;; amdgpu-corpus repo=ROCm/rocFFT kind=compiled arch=gfx1030 opt=O3
	.text
	.amdgcn_target "amdgcn-amd-amdhsa--gfx1030"
	.amdhsa_code_object_version 6
	.protected	fft_rtc_fwd_len1352_factors_2_13_13_4_wgs_52_tpt_52_halfLds_dp_op_CI_CI_unitstride_sbrr_C2R_dirReg ; -- Begin function fft_rtc_fwd_len1352_factors_2_13_13_4_wgs_52_tpt_52_halfLds_dp_op_CI_CI_unitstride_sbrr_C2R_dirReg
	.globl	fft_rtc_fwd_len1352_factors_2_13_13_4_wgs_52_tpt_52_halfLds_dp_op_CI_CI_unitstride_sbrr_C2R_dirReg
	.p2align	8
	.type	fft_rtc_fwd_len1352_factors_2_13_13_4_wgs_52_tpt_52_halfLds_dp_op_CI_CI_unitstride_sbrr_C2R_dirReg,@function
fft_rtc_fwd_len1352_factors_2_13_13_4_wgs_52_tpt_52_halfLds_dp_op_CI_CI_unitstride_sbrr_C2R_dirReg: ; @fft_rtc_fwd_len1352_factors_2_13_13_4_wgs_52_tpt_52_halfLds_dp_op_CI_CI_unitstride_sbrr_C2R_dirReg
; %bb.0:
	s_clause 0x2
	s_load_dwordx4 s[12:15], s[4:5], 0x0
	s_load_dwordx4 s[8:11], s[4:5], 0x58
	;; [unrolled: 1-line block ×3, first 2 shown]
	v_mul_u32_u24_e32 v1, 0x4ed, v0
	v_mov_b32_e32 v3, 0
	v_add_nc_u32_sdwa v5, s6, v1 dst_sel:DWORD dst_unused:UNUSED_PAD src0_sel:DWORD src1_sel:WORD_1
	v_mov_b32_e32 v1, 0
	v_mov_b32_e32 v6, v3
	v_mov_b32_e32 v2, 0
	s_waitcnt lgkmcnt(0)
	v_cmp_lt_u64_e64 s0, s[14:15], 2
	s_and_b32 vcc_lo, exec_lo, s0
	s_cbranch_vccnz .LBB0_8
; %bb.1:
	s_load_dwordx2 s[0:1], s[4:5], 0x10
	v_mov_b32_e32 v1, 0
	v_mov_b32_e32 v2, 0
	s_add_u32 s2, s18, 8
	s_addc_u32 s3, s19, 0
	s_add_u32 s6, s16, 8
	s_addc_u32 s7, s17, 0
	v_mov_b32_e32 v113, v2
	v_mov_b32_e32 v112, v1
	s_mov_b64 s[22:23], 1
	s_waitcnt lgkmcnt(0)
	s_add_u32 s20, s0, 8
	s_addc_u32 s21, s1, 0
.LBB0_2:                                ; =>This Inner Loop Header: Depth=1
	s_load_dwordx2 s[24:25], s[20:21], 0x0
                                        ; implicit-def: $vgpr116_vgpr117
	s_mov_b32 s0, exec_lo
	s_waitcnt lgkmcnt(0)
	v_or_b32_e32 v4, s25, v6
	v_cmpx_ne_u64_e32 0, v[3:4]
	s_xor_b32 s1, exec_lo, s0
	s_cbranch_execz .LBB0_4
; %bb.3:                                ;   in Loop: Header=BB0_2 Depth=1
	v_cvt_f32_u32_e32 v4, s24
	v_cvt_f32_u32_e32 v7, s25
	s_sub_u32 s0, 0, s24
	s_subb_u32 s26, 0, s25
	v_fmac_f32_e32 v4, 0x4f800000, v7
	v_rcp_f32_e32 v4, v4
	v_mul_f32_e32 v4, 0x5f7ffffc, v4
	v_mul_f32_e32 v7, 0x2f800000, v4
	v_trunc_f32_e32 v7, v7
	v_fmac_f32_e32 v4, 0xcf800000, v7
	v_cvt_u32_f32_e32 v7, v7
	v_cvt_u32_f32_e32 v4, v4
	v_mul_lo_u32 v8, s0, v7
	v_mul_hi_u32 v9, s0, v4
	v_mul_lo_u32 v10, s26, v4
	v_add_nc_u32_e32 v8, v9, v8
	v_mul_lo_u32 v9, s0, v4
	v_add_nc_u32_e32 v8, v8, v10
	v_mul_hi_u32 v10, v4, v9
	v_mul_lo_u32 v11, v4, v8
	v_mul_hi_u32 v12, v4, v8
	v_mul_hi_u32 v13, v7, v9
	v_mul_lo_u32 v9, v7, v9
	v_mul_hi_u32 v14, v7, v8
	v_mul_lo_u32 v8, v7, v8
	v_add_co_u32 v10, vcc_lo, v10, v11
	v_add_co_ci_u32_e32 v11, vcc_lo, 0, v12, vcc_lo
	v_add_co_u32 v9, vcc_lo, v10, v9
	v_add_co_ci_u32_e32 v9, vcc_lo, v11, v13, vcc_lo
	v_add_co_ci_u32_e32 v10, vcc_lo, 0, v14, vcc_lo
	v_add_co_u32 v8, vcc_lo, v9, v8
	v_add_co_ci_u32_e32 v9, vcc_lo, 0, v10, vcc_lo
	v_add_co_u32 v4, vcc_lo, v4, v8
	v_add_co_ci_u32_e32 v7, vcc_lo, v7, v9, vcc_lo
	v_mul_hi_u32 v8, s0, v4
	v_mul_lo_u32 v10, s26, v4
	v_mul_lo_u32 v9, s0, v7
	v_add_nc_u32_e32 v8, v8, v9
	v_mul_lo_u32 v9, s0, v4
	v_add_nc_u32_e32 v8, v8, v10
	v_mul_hi_u32 v10, v4, v9
	v_mul_lo_u32 v11, v4, v8
	v_mul_hi_u32 v12, v4, v8
	v_mul_hi_u32 v13, v7, v9
	v_mul_lo_u32 v9, v7, v9
	v_mul_hi_u32 v14, v7, v8
	v_mul_lo_u32 v8, v7, v8
	v_add_co_u32 v10, vcc_lo, v10, v11
	v_add_co_ci_u32_e32 v11, vcc_lo, 0, v12, vcc_lo
	v_add_co_u32 v9, vcc_lo, v10, v9
	v_add_co_ci_u32_e32 v9, vcc_lo, v11, v13, vcc_lo
	v_add_co_ci_u32_e32 v10, vcc_lo, 0, v14, vcc_lo
	v_add_co_u32 v8, vcc_lo, v9, v8
	v_add_co_ci_u32_e32 v9, vcc_lo, 0, v10, vcc_lo
	v_add_co_u32 v4, vcc_lo, v4, v8
	v_add_co_ci_u32_e32 v11, vcc_lo, v7, v9, vcc_lo
	v_mul_hi_u32 v13, v5, v4
	v_mad_u64_u32 v[9:10], null, v6, v4, 0
	v_mad_u64_u32 v[7:8], null, v5, v11, 0
	;; [unrolled: 1-line block ×3, first 2 shown]
	v_add_co_u32 v4, vcc_lo, v13, v7
	v_add_co_ci_u32_e32 v7, vcc_lo, 0, v8, vcc_lo
	v_add_co_u32 v4, vcc_lo, v4, v9
	v_add_co_ci_u32_e32 v4, vcc_lo, v7, v10, vcc_lo
	v_add_co_ci_u32_e32 v7, vcc_lo, 0, v12, vcc_lo
	v_add_co_u32 v4, vcc_lo, v4, v11
	v_add_co_ci_u32_e32 v9, vcc_lo, 0, v7, vcc_lo
	v_mul_lo_u32 v10, s25, v4
	v_mad_u64_u32 v[7:8], null, s24, v4, 0
	v_mul_lo_u32 v11, s24, v9
	v_sub_co_u32 v7, vcc_lo, v5, v7
	v_add3_u32 v8, v8, v11, v10
	v_sub_nc_u32_e32 v10, v6, v8
	v_subrev_co_ci_u32_e64 v10, s0, s25, v10, vcc_lo
	v_add_co_u32 v11, s0, v4, 2
	v_add_co_ci_u32_e64 v12, s0, 0, v9, s0
	v_sub_co_u32 v13, s0, v7, s24
	v_sub_co_ci_u32_e32 v8, vcc_lo, v6, v8, vcc_lo
	v_subrev_co_ci_u32_e64 v10, s0, 0, v10, s0
	v_cmp_le_u32_e32 vcc_lo, s24, v13
	v_cmp_eq_u32_e64 s0, s25, v8
	v_cndmask_b32_e64 v13, 0, -1, vcc_lo
	v_cmp_le_u32_e32 vcc_lo, s25, v10
	v_cndmask_b32_e64 v14, 0, -1, vcc_lo
	v_cmp_le_u32_e32 vcc_lo, s24, v7
	;; [unrolled: 2-line block ×3, first 2 shown]
	v_cndmask_b32_e64 v15, 0, -1, vcc_lo
	v_cmp_eq_u32_e32 vcc_lo, s25, v10
	v_cndmask_b32_e64 v7, v15, v7, s0
	v_cndmask_b32_e32 v10, v14, v13, vcc_lo
	v_add_co_u32 v13, vcc_lo, v4, 1
	v_add_co_ci_u32_e32 v14, vcc_lo, 0, v9, vcc_lo
	v_cmp_ne_u32_e32 vcc_lo, 0, v10
	v_cndmask_b32_e32 v8, v14, v12, vcc_lo
	v_cndmask_b32_e32 v10, v13, v11, vcc_lo
	v_cmp_ne_u32_e32 vcc_lo, 0, v7
	v_cndmask_b32_e32 v117, v9, v8, vcc_lo
	v_cndmask_b32_e32 v116, v4, v10, vcc_lo
.LBB0_4:                                ;   in Loop: Header=BB0_2 Depth=1
	s_andn2_saveexec_b32 s0, s1
	s_cbranch_execz .LBB0_6
; %bb.5:                                ;   in Loop: Header=BB0_2 Depth=1
	v_cvt_f32_u32_e32 v4, s24
	s_sub_i32 s1, 0, s24
	v_mov_b32_e32 v117, v3
	v_rcp_iflag_f32_e32 v4, v4
	v_mul_f32_e32 v4, 0x4f7ffffe, v4
	v_cvt_u32_f32_e32 v4, v4
	v_mul_lo_u32 v7, s1, v4
	v_mul_hi_u32 v7, v4, v7
	v_add_nc_u32_e32 v4, v4, v7
	v_mul_hi_u32 v4, v5, v4
	v_mul_lo_u32 v7, v4, s24
	v_add_nc_u32_e32 v8, 1, v4
	v_sub_nc_u32_e32 v7, v5, v7
	v_subrev_nc_u32_e32 v9, s24, v7
	v_cmp_le_u32_e32 vcc_lo, s24, v7
	v_cndmask_b32_e32 v7, v7, v9, vcc_lo
	v_cndmask_b32_e32 v4, v4, v8, vcc_lo
	v_cmp_le_u32_e32 vcc_lo, s24, v7
	v_add_nc_u32_e32 v8, 1, v4
	v_cndmask_b32_e32 v116, v4, v8, vcc_lo
.LBB0_6:                                ;   in Loop: Header=BB0_2 Depth=1
	s_or_b32 exec_lo, exec_lo, s0
	v_mul_lo_u32 v4, v117, s24
	v_mul_lo_u32 v9, v116, s25
	s_load_dwordx2 s[0:1], s[6:7], 0x0
	v_mad_u64_u32 v[7:8], null, v116, s24, 0
	s_load_dwordx2 s[24:25], s[2:3], 0x0
	s_add_u32 s22, s22, 1
	s_addc_u32 s23, s23, 0
	s_add_u32 s2, s2, 8
	s_addc_u32 s3, s3, 0
	s_add_u32 s6, s6, 8
	v_add3_u32 v4, v8, v9, v4
	v_sub_co_u32 v5, vcc_lo, v5, v7
	s_addc_u32 s7, s7, 0
	s_add_u32 s20, s20, 8
	v_sub_co_ci_u32_e32 v4, vcc_lo, v6, v4, vcc_lo
	s_addc_u32 s21, s21, 0
	s_waitcnt lgkmcnt(0)
	v_mul_lo_u32 v6, s0, v4
	v_mul_lo_u32 v7, s1, v5
	v_mad_u64_u32 v[1:2], null, s0, v5, v[1:2]
	v_mul_lo_u32 v4, s24, v4
	v_mul_lo_u32 v8, s25, v5
	v_mad_u64_u32 v[112:113], null, s24, v5, v[112:113]
	v_cmp_ge_u64_e64 s0, s[22:23], s[14:15]
	v_add3_u32 v2, v7, v2, v6
	v_add3_u32 v113, v8, v113, v4
	s_and_b32 vcc_lo, exec_lo, s0
	s_cbranch_vccnz .LBB0_9
; %bb.7:                                ;   in Loop: Header=BB0_2 Depth=1
	v_mov_b32_e32 v5, v116
	v_mov_b32_e32 v6, v117
	s_branch .LBB0_2
.LBB0_8:
	v_mov_b32_e32 v113, v2
	v_mov_b32_e32 v117, v6
	;; [unrolled: 1-line block ×4, first 2 shown]
.LBB0_9:
	s_load_dwordx2 s[0:1], s[4:5], 0x28
	v_mul_hi_u32 v3, 0x4ec4ec5, v0
	s_lshl_b64 s[4:5], s[14:15], 3
                                        ; implicit-def: $vgpr114
	s_add_u32 s2, s18, s4
	s_addc_u32 s3, s19, s5
	s_waitcnt lgkmcnt(0)
	v_cmp_gt_u64_e32 vcc_lo, s[0:1], v[116:117]
	v_cmp_le_u64_e64 s0, s[0:1], v[116:117]
	s_and_saveexec_b32 s1, s0
	s_xor_b32 s0, exec_lo, s1
; %bb.10:
	v_mul_u32_u24_e32 v1, 52, v3
                                        ; implicit-def: $vgpr3
	v_sub_nc_u32_e32 v114, v0, v1
                                        ; implicit-def: $vgpr0
                                        ; implicit-def: $vgpr1_vgpr2
; %bb.11:
	s_or_saveexec_b32 s1, s0
	s_load_dwordx2 s[2:3], s[2:3], 0x0
	s_xor_b32 exec_lo, exec_lo, s1
	s_cbranch_execz .LBB0_15
; %bb.12:
	s_add_u32 s4, s16, s4
	s_addc_u32 s5, s17, s5
	v_lshlrev_b64 v[1:2], 4, v[1:2]
	s_load_dwordx2 s[4:5], s[4:5], 0x0
	s_waitcnt lgkmcnt(0)
	v_mul_lo_u32 v6, s5, v116
	v_mul_lo_u32 v7, s4, v117
	v_mad_u64_u32 v[4:5], null, s4, v116, 0
	v_add3_u32 v5, v5, v7, v6
	v_mul_u32_u24_e32 v6, 52, v3
	v_lshlrev_b64 v[3:4], 4, v[4:5]
	v_sub_nc_u32_e32 v114, v0, v6
	v_lshlrev_b32_e32 v106, 4, v114
	v_add_co_u32 v0, s0, s8, v3
	v_add_co_ci_u32_e64 v3, s0, s9, v4, s0
	v_add_co_u32 v0, s0, v0, v1
	v_add_co_ci_u32_e64 v1, s0, v3, v2, s0
	v_or_b32_e32 v2, 0x3400, v106
	v_add_co_u32 v74, s0, v0, v106
	v_add_co_ci_u32_e64 v75, s0, 0, v1, s0
	v_add_co_u32 v50, s0, v0, v2
	v_add_co_ci_u32_e64 v51, s0, 0, v1, s0
	;; [unrolled: 2-line block ×12, first 2 shown]
	s_clause 0x19
	global_load_dwordx4 v[2:5], v[74:75], off
	global_load_dwordx4 v[6:9], v[74:75], off offset:832
	global_load_dwordx4 v[10:13], v[74:75], off offset:1664
	;; [unrolled: 1-line block ×11, first 2 shown]
	global_load_dwordx4 v[50:53], v[50:51], off
	global_load_dwordx4 v[54:57], v[70:71], off offset:1856
	global_load_dwordx4 v[58:61], v[58:59], off offset:1792
	;; [unrolled: 1-line block ×13, first 2 shown]
	v_add_nc_u32_e32 v106, 0, v106
	v_cmp_eq_u32_e64 s0, 51, v114
	s_waitcnt vmcnt(25)
	ds_write_b128 v106, v[2:5]
	s_waitcnt vmcnt(24)
	ds_write_b128 v106, v[6:9] offset:832
	s_waitcnt vmcnt(23)
	ds_write_b128 v106, v[10:13] offset:1664
	;; [unrolled: 2-line block ×3, first 2 shown]
	ds_write_b128 v106, v[14:17] offset:2496
	ds_write_b128 v106, v[18:21] offset:3328
	;; [unrolled: 1-line block ×9, first 2 shown]
	s_waitcnt vmcnt(11)
	ds_write_b128 v106, v[58:61] offset:9984
	s_waitcnt vmcnt(10)
	ds_write_b128 v106, v[62:65] offset:10816
	;; [unrolled: 2-line block ×4, first 2 shown]
	ds_write_b128 v106, v[54:57] offset:14144
	s_waitcnt vmcnt(7)
	ds_write_b128 v106, v[74:77] offset:14976
	s_waitcnt vmcnt(6)
	;; [unrolled: 2-line block ×8, first 2 shown]
	ds_write_b128 v106, v[102:105] offset:20800
	s_and_saveexec_b32 s4, s0
	s_cbranch_execz .LBB0_14
; %bb.13:
	v_add_co_u32 v0, s0, 0x5000, v0
	v_add_co_ci_u32_e64 v1, s0, 0, v1, s0
	v_mov_b32_e32 v4, 0
	v_mov_b32_e32 v114, 51
	global_load_dwordx4 v[0:3], v[0:1], off offset:1152
	s_waitcnt vmcnt(0)
	ds_write_b128 v4, v[0:3] offset:21632
.LBB0_14:
	s_or_b32 exec_lo, exec_lo, s4
.LBB0_15:
	s_or_b32 exec_lo, exec_lo, s1
	v_lshlrev_b32_e32 v0, 4, v114
	s_waitcnt lgkmcnt(0)
	s_barrier
	buffer_gl0_inv
	s_add_u32 s1, s12, 0x5460
	v_add_nc_u32_e32 v142, 0, v0
	v_sub_nc_u32_e32 v10, 0, v0
	s_addc_u32 s4, s13, 0
	s_mov_b32 s5, exec_lo
                                        ; implicit-def: $vgpr4_vgpr5
	ds_read_b64 v[6:7], v142
	ds_read_b64 v[8:9], v10 offset:21632
	s_waitcnt lgkmcnt(0)
	v_add_f64 v[0:1], v[6:7], v[8:9]
	v_add_f64 v[2:3], v[6:7], -v[8:9]
	v_cmpx_ne_u32_e32 0, v114
	s_xor_b32 s5, exec_lo, s5
	s_cbranch_execz .LBB0_17
; %bb.16:
	v_mov_b32_e32 v115, 0
	v_add_f64 v[13:14], v[6:7], v[8:9]
	v_add_f64 v[15:16], v[6:7], -v[8:9]
	v_lshlrev_b64 v[0:1], 4, v[114:115]
	v_add_co_u32 v0, s0, s1, v0
	v_add_co_ci_u32_e64 v1, s0, s4, v1, s0
	global_load_dwordx4 v[2:5], v[0:1], off
	ds_read_b64 v[0:1], v10 offset:21640
	ds_read_b64 v[11:12], v142 offset:8
	s_waitcnt lgkmcnt(0)
	v_add_f64 v[6:7], v[0:1], v[11:12]
	v_add_f64 v[0:1], v[11:12], -v[0:1]
	s_waitcnt vmcnt(0)
	v_fma_f64 v[8:9], v[15:16], v[4:5], v[13:14]
	v_fma_f64 v[11:12], -v[15:16], v[4:5], v[13:14]
	v_fma_f64 v[13:14], v[6:7], v[4:5], -v[0:1]
	v_fma_f64 v[4:5], v[6:7], v[4:5], v[0:1]
	v_fma_f64 v[0:1], -v[6:7], v[2:3], v[8:9]
	v_fma_f64 v[6:7], v[6:7], v[2:3], v[11:12]
	v_fma_f64 v[8:9], v[15:16], v[2:3], v[13:14]
	v_fma_f64 v[2:3], v[15:16], v[2:3], v[4:5]
	v_mov_b32_e32 v4, v114
	v_mov_b32_e32 v5, v115
	ds_write_b128 v10, v[6:9] offset:21632
.LBB0_17:
	s_andn2_saveexec_b32 s0, s5
	s_cbranch_execz .LBB0_19
; %bb.18:
	v_mov_b32_e32 v8, 0
	ds_read_b128 v[4:7], v8 offset:10816
	s_waitcnt lgkmcnt(0)
	v_add_f64 v[11:12], v[4:5], v[4:5]
	v_mul_f64 v[13:14], v[6:7], -2.0
	v_mov_b32_e32 v4, 0
	v_mov_b32_e32 v5, 0
	ds_write_b128 v8, v[11:14] offset:10816
.LBB0_19:
	s_or_b32 exec_lo, exec_lo, s0
	v_lshlrev_b64 v[4:5], 4, v[4:5]
	v_add_nc_u32_e32 v115, 0x138, v114
	s_mov_b32 s44, 0x4267c47c
	s_mov_b32 s22, 0x42a4c3d2
	;; [unrolled: 1-line block ×4, first 2 shown]
	v_add_co_u32 v4, s0, s1, v4
	v_add_co_ci_u32_e64 v5, s0, s4, v5, s0
	s_mov_b32 s20, 0x24c2f84
	v_add_co_u32 v23, s0, 0x800, v4
	s_clause 0x1
	global_load_dwordx4 v[6:9], v[4:5], off offset:832
	global_load_dwordx4 v[11:14], v[4:5], off offset:1664
	v_add_co_ci_u32_e64 v24, s0, 0, v5, s0
	ds_write_b128 v142, v[0:3]
	s_mov_b32 s34, 0x4bc48dbf
	s_mov_b32 s45, 0xbfddbe06
	global_load_dwordx4 v[15:18], v[23:24], off offset:448
	ds_read_b128 v[0:3], v142 offset:832
	ds_read_b128 v[19:22], v10 offset:20800
	global_load_dwordx4 v[23:26], v[23:24], off offset:1280
	s_mov_b32 s23, 0xbfea55e2
	s_mov_b32 s27, 0xbfefc445
	;; [unrolled: 1-line block ×18, first 2 shown]
	s_waitcnt lgkmcnt(0)
	v_add_f64 v[27:28], v[0:1], v[19:20]
	v_add_f64 v[29:30], v[21:22], v[2:3]
	v_add_f64 v[31:32], v[0:1], -v[19:20]
	v_add_f64 v[0:1], v[2:3], -v[21:22]
	s_mov_b32 s38, s20
	s_mov_b32 s29, 0x3fefc445
	;; [unrolled: 1-line block ×11, first 2 shown]
	s_waitcnt vmcnt(3)
	v_fma_f64 v[2:3], v[31:32], v[8:9], v[27:28]
	v_fma_f64 v[19:20], v[29:30], v[8:9], v[0:1]
	v_fma_f64 v[21:22], -v[31:32], v[8:9], v[27:28]
	v_fma_f64 v[8:9], v[29:30], v[8:9], -v[0:1]
	v_add_co_u32 v27, s0, 0x1000, v4
	v_add_co_ci_u32_e64 v28, s0, 0, v5, s0
	v_fma_f64 v[0:1], -v[29:30], v[6:7], v[2:3]
	v_fma_f64 v[2:3], v[31:32], v[6:7], v[19:20]
	v_fma_f64 v[19:20], v[29:30], v[6:7], v[21:22]
	v_fma_f64 v[21:22], v[31:32], v[6:7], v[8:9]
	ds_write_b128 v142, v[0:3] offset:832
	ds_write_b128 v10, v[19:22] offset:20800
	ds_read_b128 v[0:3], v142 offset:1664
	ds_read_b128 v[6:9], v10 offset:19968
	global_load_dwordx4 v[19:22], v[27:28], off offset:64
	s_waitcnt lgkmcnt(0)
	v_add_f64 v[29:30], v[0:1], v[6:7]
	v_add_f64 v[31:32], v[8:9], v[2:3]
	v_add_f64 v[33:34], v[0:1], -v[6:7]
	v_add_f64 v[0:1], v[2:3], -v[8:9]
	s_waitcnt vmcnt(3)
	v_fma_f64 v[2:3], v[33:34], v[13:14], v[29:30]
	v_fma_f64 v[6:7], v[31:32], v[13:14], v[0:1]
	v_fma_f64 v[8:9], -v[33:34], v[13:14], v[29:30]
	v_fma_f64 v[13:14], v[31:32], v[13:14], -v[0:1]
	v_fma_f64 v[0:1], -v[31:32], v[11:12], v[2:3]
	v_fma_f64 v[2:3], v[33:34], v[11:12], v[6:7]
	v_fma_f64 v[6:7], v[31:32], v[11:12], v[8:9]
	v_fma_f64 v[8:9], v[33:34], v[11:12], v[13:14]
	ds_write_b128 v142, v[0:3] offset:1664
	ds_write_b128 v10, v[6:9] offset:19968
	ds_read_b128 v[0:3], v142 offset:2496
	ds_read_b128 v[6:9], v10 offset:19136
	global_load_dwordx4 v[11:14], v[27:28], off offset:896
	s_waitcnt lgkmcnt(0)
	v_add_f64 v[29:30], v[0:1], v[6:7]
	v_add_f64 v[31:32], v[8:9], v[2:3]
	v_add_f64 v[33:34], v[0:1], -v[6:7]
	v_add_f64 v[0:1], v[2:3], -v[8:9]
	s_waitcnt vmcnt(3)
	v_fma_f64 v[2:3], v[33:34], v[17:18], v[29:30]
	v_fma_f64 v[6:7], v[31:32], v[17:18], v[0:1]
	v_fma_f64 v[8:9], -v[33:34], v[17:18], v[29:30]
	v_fma_f64 v[17:18], v[31:32], v[17:18], -v[0:1]
	;; [unrolled: 19-line block ×3, first 2 shown]
	v_add_co_u32 v27, s0, 0x1800, v4
	v_add_co_ci_u32_e64 v28, s0, 0, v5, s0
	v_fma_f64 v[0:1], -v[29:30], v[23:24], v[2:3]
	v_fma_f64 v[2:3], v[31:32], v[23:24], v[6:7]
	v_fma_f64 v[6:7], v[29:30], v[23:24], v[8:9]
	;; [unrolled: 1-line block ×3, first 2 shown]
	ds_write_b128 v142, v[0:3] offset:3328
	ds_write_b128 v10, v[6:9] offset:18304
	ds_read_b128 v[0:3], v142 offset:4160
	ds_read_b128 v[6:9], v10 offset:17472
	global_load_dwordx4 v[23:26], v[27:28], off offset:512
	s_waitcnt lgkmcnt(0)
	v_add_f64 v[29:30], v[0:1], v[6:7]
	v_add_f64 v[31:32], v[8:9], v[2:3]
	v_add_f64 v[33:34], v[0:1], -v[6:7]
	v_add_f64 v[0:1], v[2:3], -v[8:9]
	s_waitcnt vmcnt(3)
	v_fma_f64 v[2:3], v[33:34], v[21:22], v[29:30]
	v_fma_f64 v[6:7], v[31:32], v[21:22], v[0:1]
	v_fma_f64 v[8:9], -v[33:34], v[21:22], v[29:30]
	v_fma_f64 v[21:22], v[31:32], v[21:22], -v[0:1]
	v_fma_f64 v[0:1], -v[31:32], v[19:20], v[2:3]
	v_fma_f64 v[2:3], v[33:34], v[19:20], v[6:7]
	v_fma_f64 v[6:7], v[31:32], v[19:20], v[8:9]
	;; [unrolled: 1-line block ×3, first 2 shown]
	ds_write_b128 v142, v[0:3] offset:4160
	ds_write_b128 v10, v[6:9] offset:17472
	ds_read_b128 v[0:3], v142 offset:4992
	ds_read_b128 v[6:9], v10 offset:16640
	global_load_dwordx4 v[19:22], v[27:28], off offset:1344
	s_waitcnt lgkmcnt(0)
	v_add_f64 v[27:28], v[0:1], v[6:7]
	v_add_f64 v[29:30], v[8:9], v[2:3]
	v_add_f64 v[31:32], v[0:1], -v[6:7]
	v_add_f64 v[0:1], v[2:3], -v[8:9]
	s_waitcnt vmcnt(3)
	v_fma_f64 v[2:3], v[31:32], v[13:14], v[27:28]
	v_fma_f64 v[6:7], v[29:30], v[13:14], v[0:1]
	v_fma_f64 v[8:9], -v[31:32], v[13:14], v[27:28]
	v_fma_f64 v[13:14], v[29:30], v[13:14], -v[0:1]
	v_add_co_u32 v27, s0, 0x2000, v4
	v_add_co_ci_u32_e64 v28, s0, 0, v5, s0
	v_cmp_gt_u32_e64 s0, 26, v114
	v_fma_f64 v[0:1], -v[29:30], v[11:12], v[2:3]
	v_fma_f64 v[2:3], v[31:32], v[11:12], v[6:7]
	v_fma_f64 v[6:7], v[29:30], v[11:12], v[8:9]
	v_fma_f64 v[8:9], v[31:32], v[11:12], v[13:14]
	ds_write_b128 v142, v[0:3] offset:4992
	ds_write_b128 v10, v[6:9] offset:16640
	ds_read_b128 v[0:3], v142 offset:5824
	ds_read_b128 v[4:7], v10 offset:15808
	global_load_dwordx4 v[11:14], v[27:28], off offset:128
	s_waitcnt lgkmcnt(0)
	v_add_f64 v[8:9], v[0:1], v[4:5]
	v_add_f64 v[29:30], v[6:7], v[2:3]
	v_add_f64 v[31:32], v[0:1], -v[4:5]
	v_add_f64 v[0:1], v[2:3], -v[6:7]
	s_waitcnt vmcnt(3)
	v_fma_f64 v[2:3], v[31:32], v[17:18], v[8:9]
	v_fma_f64 v[4:5], v[29:30], v[17:18], v[0:1]
	v_fma_f64 v[6:7], -v[31:32], v[17:18], v[8:9]
	v_fma_f64 v[8:9], v[29:30], v[17:18], -v[0:1]
	v_fma_f64 v[0:1], -v[29:30], v[15:16], v[2:3]
	v_fma_f64 v[2:3], v[31:32], v[15:16], v[4:5]
	v_fma_f64 v[4:5], v[29:30], v[15:16], v[6:7]
	v_fma_f64 v[6:7], v[31:32], v[15:16], v[8:9]
	ds_write_b128 v142, v[0:3] offset:5824
	ds_write_b128 v10, v[4:7] offset:15808
	ds_read_b128 v[0:3], v142 offset:6656
	ds_read_b128 v[4:7], v10 offset:14976
	global_load_dwordx4 v[15:18], v[27:28], off offset:960
	s_waitcnt lgkmcnt(0)
	v_add_f64 v[8:9], v[0:1], v[4:5]
	v_add_f64 v[29:30], v[6:7], v[2:3]
	v_add_f64 v[31:32], v[0:1], -v[4:5]
	v_add_f64 v[0:1], v[2:3], -v[6:7]
	s_waitcnt vmcnt(3)
	v_fma_f64 v[2:3], v[31:32], v[25:26], v[8:9]
	v_fma_f64 v[4:5], v[29:30], v[25:26], v[0:1]
	v_fma_f64 v[6:7], -v[31:32], v[25:26], v[8:9]
	v_fma_f64 v[8:9], v[29:30], v[25:26], -v[0:1]
	;; [unrolled: 19-line block ×3, first 2 shown]
	v_fma_f64 v[0:1], -v[27:28], v[19:20], v[2:3]
	v_fma_f64 v[2:3], v[29:30], v[19:20], v[4:5]
	v_fma_f64 v[4:5], v[27:28], v[19:20], v[6:7]
	v_fma_f64 v[6:7], v[29:30], v[19:20], v[8:9]
	ds_write_b128 v142, v[0:3] offset:7488
	ds_write_b128 v10, v[4:7] offset:14144
	ds_read_b128 v[0:3], v142 offset:8320
	ds_read_b128 v[4:7], v10 offset:13312
	s_waitcnt lgkmcnt(0)
	v_add_f64 v[8:9], v[0:1], v[4:5]
	v_add_f64 v[19:20], v[6:7], v[2:3]
	v_add_f64 v[21:22], v[0:1], -v[4:5]
	v_add_f64 v[0:1], v[2:3], -v[6:7]
	s_waitcnt vmcnt(2)
	v_fma_f64 v[2:3], v[21:22], v[13:14], v[8:9]
	v_fma_f64 v[4:5], v[19:20], v[13:14], v[0:1]
	v_fma_f64 v[6:7], -v[21:22], v[13:14], v[8:9]
	v_fma_f64 v[8:9], v[19:20], v[13:14], -v[0:1]
	v_fma_f64 v[0:1], -v[19:20], v[11:12], v[2:3]
	v_fma_f64 v[2:3], v[21:22], v[11:12], v[4:5]
	v_fma_f64 v[4:5], v[19:20], v[11:12], v[6:7]
	v_fma_f64 v[6:7], v[21:22], v[11:12], v[8:9]
	ds_write_b128 v142, v[0:3] offset:8320
	ds_write_b128 v10, v[4:7] offset:13312
	ds_read_b128 v[0:3], v142 offset:9152
	ds_read_b128 v[4:7], v10 offset:12480
	s_waitcnt lgkmcnt(0)
	v_add_f64 v[8:9], v[0:1], v[4:5]
	v_add_f64 v[11:12], v[6:7], v[2:3]
	v_add_f64 v[13:14], v[0:1], -v[4:5]
	v_add_f64 v[0:1], v[2:3], -v[6:7]
	s_waitcnt vmcnt(1)
	v_fma_f64 v[2:3], v[13:14], v[17:18], v[8:9]
	v_fma_f64 v[4:5], v[11:12], v[17:18], v[0:1]
	v_fma_f64 v[6:7], -v[13:14], v[17:18], v[8:9]
	v_fma_f64 v[8:9], v[11:12], v[17:18], -v[0:1]
	;; [unrolled: 18-line block ×3, first 2 shown]
	v_fma_f64 v[0:1], -v[11:12], v[23:24], v[2:3]
	v_fma_f64 v[2:3], v[13:14], v[23:24], v[4:5]
	v_fma_f64 v[4:5], v[11:12], v[23:24], v[6:7]
	;; [unrolled: 1-line block ×3, first 2 shown]
	ds_write_b128 v142, v[0:3] offset:9984
	ds_write_b128 v10, v[4:7] offset:11648
	s_waitcnt lgkmcnt(0)
	s_barrier
	buffer_gl0_inv
	s_barrier
	buffer_gl0_inv
	ds_read_b128 v[0:3], v142 offset:10816
	ds_read_b128 v[4:7], v142
	ds_read_b128 v[8:11], v142 offset:832
	ds_read_b128 v[12:15], v142 offset:11648
	;; [unrolled: 1-line block ×11, first 2 shown]
	s_waitcnt lgkmcnt(11)
	v_add_f64 v[52:53], v[4:5], -v[0:1]
	v_add_f64 v[54:55], v[6:7], -v[2:3]
	ds_read_b128 v[0:3], v142 offset:15808
	s_waitcnt lgkmcnt(10)
	v_add_f64 v[56:57], v[8:9], -v[12:13]
	v_add_f64 v[58:59], v[10:11], -v[14:15]
	s_waitcnt lgkmcnt(8)
	v_add_f64 v[60:61], v[20:21], -v[16:17]
	s_waitcnt lgkmcnt(6)
	v_add_f64 v[64:65], v[24:25], -v[28:29]
	v_add_f64 v[66:67], v[26:27], -v[30:31]
	s_waitcnt lgkmcnt(4)
	v_add_f64 v[68:69], v[36:37], -v[32:33]
	v_add_f64 v[70:71], v[38:39], -v[34:35]
	ds_read_b128 v[28:31], v142 offset:4992
	ds_read_b128 v[32:35], v142 offset:5824
	s_waitcnt lgkmcnt(4)
	v_add_f64 v[72:73], v[40:41], -v[44:45]
	v_add_f64 v[74:75], v[42:43], -v[46:47]
	;; [unrolled: 1-line block ×3, first 2 shown]
	v_fma_f64 v[122:123], v[4:5], 2.0, -v[52:53]
	v_fma_f64 v[124:125], v[6:7], 2.0, -v[54:55]
	;; [unrolled: 1-line block ×3, first 2 shown]
	s_waitcnt lgkmcnt(1)
	v_add_f64 v[76:77], v[28:29], -v[0:1]
	v_add_f64 v[78:79], v[30:31], -v[2:3]
	ds_read_b128 v[0:3], v142 offset:16640
	ds_read_b128 v[12:15], v142 offset:17472
	;; [unrolled: 1-line block ×4, first 2 shown]
	v_fma_f64 v[16:17], v[40:41], 2.0, -v[72:73]
	v_fma_f64 v[18:19], v[42:43], 2.0, -v[74:75]
	;; [unrolled: 1-line block ×3, first 2 shown]
	s_waitcnt lgkmcnt(3)
	v_add_f64 v[80:81], v[32:33], -v[0:1]
	v_add_f64 v[82:83], v[34:35], -v[2:3]
	s_waitcnt lgkmcnt(1)
	v_add_f64 v[88:89], v[44:45], -v[12:13]
	v_add_f64 v[90:91], v[46:47], -v[14:15]
	ds_read_b128 v[0:3], v142 offset:18304
	ds_read_b128 v[12:15], v142 offset:19136
	ds_read_b128 v[96:99], v142 offset:8320
	ds_read_b128 v[100:103], v142 offset:9152
	v_fma_f64 v[20:21], v[28:29], 2.0, -v[76:77]
	v_fma_f64 v[22:23], v[30:31], 2.0, -v[78:79]
	s_waitcnt lgkmcnt(3)
	v_add_f64 v[92:93], v[84:85], -v[0:1]
	v_add_f64 v[94:95], v[86:87], -v[2:3]
	s_waitcnt lgkmcnt(1)
	v_add_f64 v[104:105], v[96:97], -v[12:13]
	v_add_f64 v[106:107], v[98:99], -v[14:15]
	ds_read_b128 v[0:3], v142 offset:19968
	ds_read_b128 v[12:15], v142 offset:20800
	v_fma_f64 v[28:29], v[44:45], 2.0, -v[88:89]
	v_fma_f64 v[30:31], v[46:47], 2.0, -v[90:91]
	s_waitcnt lgkmcnt(0)
	s_barrier
	buffer_gl0_inv
	v_add_f64 v[108:109], v[100:101], -v[0:1]
	v_add_f64 v[110:111], v[102:103], -v[2:3]
	;; [unrolled: 1-line block ×4, first 2 shown]
	v_fma_f64 v[0:1], v[8:9], 2.0, -v[56:57]
	v_fma_f64 v[2:3], v[10:11], 2.0, -v[58:59]
	v_fma_f64 v[8:9], v[24:25], 2.0, -v[64:65]
	v_fma_f64 v[10:11], v[26:27], 2.0, -v[66:67]
	v_fma_f64 v[12:13], v[36:37], 2.0, -v[68:69]
	v_fma_f64 v[14:15], v[38:39], 2.0, -v[70:71]
	v_fma_f64 v[24:25], v[32:33], 2.0, -v[80:81]
	v_fma_f64 v[26:27], v[34:35], 2.0, -v[82:83]
	v_fma_f64 v[32:33], v[84:85], 2.0, -v[92:93]
	v_fma_f64 v[34:35], v[86:87], 2.0, -v[94:95]
	v_fma_f64 v[36:37], v[96:97], 2.0, -v[104:105]
	v_fma_f64 v[38:39], v[98:99], 2.0, -v[106:107]
	v_fma_f64 v[40:41], v[100:101], 2.0, -v[108:109]
	v_add_nc_u32_e32 v100, 52, v114
	v_and_b32_e32 v101, 1, v114
	v_fma_f64 v[42:43], v[102:103], 2.0, -v[110:111]
	v_fma_f64 v[44:45], v[48:49], 2.0, -v[118:119]
	v_fma_f64 v[46:47], v[50:51], 2.0, -v[120:121]
	v_lshl_add_u32 v48, v114, 5, 0
	v_lshl_add_u32 v49, v100, 5, 0
	;; [unrolled: 1-line block ×3, first 2 shown]
	v_mul_u32_u24_e32 v51, 12, v101
	ds_write_b128 v48, v[52:55] offset:16
	ds_write_b128 v49, v[56:59] offset:16
	;; [unrolled: 1-line block ×13, first 2 shown]
	ds_write_b128 v48, v[122:125]
	v_lshlrev_b32_e32 v80, 4, v51
	ds_write_b128 v49, v[0:3]
	ds_write_b128 v48, v[4:7] offset:3328
	ds_write_b128 v48, v[8:11] offset:4992
	;; [unrolled: 1-line block ×4, first 2 shown]
	ds_write_b128 v50, v[20:23]
	ds_write_b128 v48, v[24:27] offset:11648
	ds_write_b128 v48, v[28:31] offset:13312
	;; [unrolled: 1-line block ×6, first 2 shown]
	s_waitcnt lgkmcnt(0)
	s_barrier
	buffer_gl0_inv
	s_clause 0x5
	global_load_dwordx4 v[0:3], v80, s[12:13]
	global_load_dwordx4 v[12:15], v80, s[12:13] offset:16
	global_load_dwordx4 v[16:19], v80, s[12:13] offset:32
	;; [unrolled: 1-line block ×5, first 2 shown]
	ds_read_b128 v[4:7], v142 offset:1664
	ds_read_b128 v[8:11], v142 offset:2496
	;; [unrolled: 1-line block ×4, first 2 shown]
	s_waitcnt vmcnt(5) lgkmcnt(3)
	v_mul_f64 v[40:41], v[6:7], v[2:3]
	v_mul_f64 v[42:43], v[4:5], v[2:3]
	s_waitcnt lgkmcnt(2)
	v_mul_f64 v[44:45], v[10:11], v[2:3]
	v_mul_f64 v[2:3], v[8:9], v[2:3]
	s_waitcnt vmcnt(4) lgkmcnt(1)
	v_mul_f64 v[48:49], v[32:33], v[14:15]
	s_waitcnt lgkmcnt(0)
	v_mul_f64 v[50:51], v[38:39], v[14:15]
	v_mul_f64 v[46:47], v[34:35], v[14:15]
	v_mul_f64 v[14:15], v[36:37], v[14:15]
	v_fma_f64 v[96:97], v[4:5], v[0:1], -v[40:41]
	v_fma_f64 v[98:99], v[6:7], v[0:1], v[42:43]
	v_fma_f64 v[4:5], v[8:9], v[0:1], -v[44:45]
	v_fma_f64 v[6:7], v[10:11], v[0:1], v[2:3]
	ds_read_b128 v[0:3], v142 offset:4992
	ds_read_b128 v[40:43], v142 offset:5824
	v_fma_f64 v[10:11], v[34:35], v[12:13], v[48:49]
	v_fma_f64 v[44:45], v[36:37], v[12:13], -v[50:51]
	v_fma_f64 v[8:9], v[32:33], v[12:13], -v[46:47]
	ds_read_b128 v[32:35], v142 offset:6656
	v_fma_f64 v[46:47], v[38:39], v[12:13], v[14:15]
	s_waitcnt vmcnt(3) lgkmcnt(2)
	v_mul_f64 v[48:49], v[2:3], v[18:19]
	v_mul_f64 v[52:53], v[0:1], v[18:19]
	s_waitcnt lgkmcnt(1)
	v_mul_f64 v[36:37], v[42:43], v[18:19]
	v_mul_f64 v[18:19], v[40:41], v[18:19]
	v_fma_f64 v[12:13], v[0:1], v[16:17], -v[48:49]
	v_fma_f64 v[14:15], v[2:3], v[16:17], v[52:53]
	ds_read_b128 v[0:3], v142 offset:7488
	v_fma_f64 v[48:49], v[40:41], v[16:17], -v[36:37]
	v_fma_f64 v[50:51], v[42:43], v[16:17], v[18:19]
	s_waitcnt vmcnt(2) lgkmcnt(1)
	v_mul_f64 v[16:17], v[34:35], v[22:23]
	v_mul_f64 v[18:19], v[32:33], v[22:23]
	s_waitcnt lgkmcnt(0)
	v_mul_f64 v[36:37], v[2:3], v[22:23]
	v_mul_f64 v[22:23], v[0:1], v[22:23]
	v_fma_f64 v[16:17], v[32:33], v[20:21], -v[16:17]
	v_fma_f64 v[18:19], v[34:35], v[20:21], v[18:19]
	ds_read_b128 v[32:35], v142 offset:8320
	v_fma_f64 v[52:53], v[0:1], v[20:21], -v[36:37]
	v_fma_f64 v[54:55], v[2:3], v[20:21], v[22:23]
	ds_read_b128 v[0:3], v142 offset:9152
	s_waitcnt vmcnt(1) lgkmcnt(1)
	v_mul_f64 v[20:21], v[34:35], v[26:27]
	v_mul_f64 v[22:23], v[32:33], v[26:27]
	v_fma_f64 v[20:21], v[32:33], v[24:25], -v[20:21]
	s_waitcnt lgkmcnt(0)
	v_mul_f64 v[32:33], v[2:3], v[26:27]
	v_mul_f64 v[26:27], v[0:1], v[26:27]
	v_fma_f64 v[22:23], v[34:35], v[24:25], v[22:23]
	v_fma_f64 v[56:57], v[0:1], v[24:25], -v[32:33]
	v_fma_f64 v[58:59], v[2:3], v[24:25], v[26:27]
	ds_read_b128 v[0:3], v142 offset:9984
	ds_read_b128 v[32:35], v142 offset:10816
	s_waitcnt vmcnt(0) lgkmcnt(1)
	v_mul_f64 v[24:25], v[2:3], v[30:31]
	v_fma_f64 v[24:25], v[0:1], v[28:29], -v[24:25]
	v_mul_f64 v[0:1], v[0:1], v[30:31]
	v_fma_f64 v[26:27], v[2:3], v[28:29], v[0:1]
	s_waitcnt lgkmcnt(0)
	v_mul_f64 v[0:1], v[34:35], v[30:31]
	v_fma_f64 v[60:61], v[32:33], v[28:29], -v[0:1]
	v_mul_f64 v[0:1], v[32:33], v[30:31]
	v_fma_f64 v[62:63], v[34:35], v[28:29], v[0:1]
	s_clause 0x1
	global_load_dwordx4 v[0:3], v80, s[12:13] offset:96
	global_load_dwordx4 v[36:39], v80, s[12:13] offset:112
	ds_read_b128 v[30:33], v142 offset:11648
	ds_read_b128 v[40:43], v142 offset:12480
	s_waitcnt vmcnt(1) lgkmcnt(1)
	v_mul_f64 v[28:29], v[32:33], v[2:3]
	v_fma_f64 v[28:29], v[30:31], v[0:1], -v[28:29]
	v_mul_f64 v[30:31], v[30:31], v[2:3]
	v_add_f64 v[207:208], v[24:25], v[28:29]
	v_fma_f64 v[30:31], v[32:33], v[0:1], v[30:31]
	s_waitcnt lgkmcnt(0)
	v_mul_f64 v[32:33], v[42:43], v[2:3]
	v_mul_f64 v[2:3], v[40:41], v[2:3]
	v_add_f64 v[213:214], v[26:27], v[30:31]
	v_fma_f64 v[64:65], v[40:41], v[0:1], -v[32:33]
	v_fma_f64 v[66:67], v[42:43], v[0:1], v[2:3]
	ds_read_b128 v[0:3], v142 offset:13312
	ds_read_b128 v[40:43], v142 offset:14144
	s_waitcnt vmcnt(0) lgkmcnt(1)
	v_mul_f64 v[32:33], v[2:3], v[38:39]
	v_fma_f64 v[32:33], v[0:1], v[36:37], -v[32:33]
	v_mul_f64 v[0:1], v[0:1], v[38:39]
	v_add_f64 v[199:200], v[20:21], v[32:33]
	v_fma_f64 v[34:35], v[2:3], v[36:37], v[0:1]
	s_waitcnt lgkmcnt(0)
	v_mul_f64 v[0:1], v[42:43], v[38:39]
	v_add_f64 v[201:202], v[20:21], -v[32:33]
	v_add_f64 v[197:198], v[22:23], -v[34:35]
	v_fma_f64 v[68:69], v[40:41], v[36:37], -v[0:1]
	v_mul_f64 v[0:1], v[40:41], v[38:39]
	v_add_f64 v[203:204], v[22:23], v[34:35]
	v_fma_f64 v[70:71], v[42:43], v[36:37], v[0:1]
	s_clause 0x1
	global_load_dwordx4 v[0:3], v80, s[12:13] offset:128
	global_load_dwordx4 v[81:84], v80, s[12:13] offset:144
	ds_read_b128 v[38:41], v142 offset:14976
	ds_read_b128 v[74:77], v142 offset:15808
	s_waitcnt vmcnt(1) lgkmcnt(1)
	v_mul_f64 v[36:37], v[40:41], v[2:3]
	v_fma_f64 v[36:37], v[38:39], v[0:1], -v[36:37]
	v_mul_f64 v[38:39], v[38:39], v[2:3]
	v_add_f64 v[191:192], v[16:17], v[36:37]
	v_fma_f64 v[38:39], v[40:41], v[0:1], v[38:39]
	s_waitcnt lgkmcnt(0)
	v_mul_f64 v[40:41], v[76:77], v[2:3]
	v_mul_f64 v[2:3], v[74:75], v[2:3]
	v_add_f64 v[193:194], v[16:17], -v[36:37]
	v_add_f64 v[189:190], v[18:19], -v[38:39]
	v_fma_f64 v[72:73], v[74:75], v[0:1], -v[40:41]
	v_fma_f64 v[74:75], v[76:77], v[0:1], v[2:3]
	ds_read_b128 v[0:3], v142 offset:16640
	ds_read_b128 v[85:88], v142 offset:17472
	v_add_f64 v[195:196], v[18:19], v[38:39]
	s_waitcnt vmcnt(0) lgkmcnt(1)
	v_mul_f64 v[40:41], v[2:3], v[83:84]
	v_fma_f64 v[40:41], v[0:1], v[81:82], -v[40:41]
	v_mul_f64 v[0:1], v[0:1], v[83:84]
	v_add_f64 v[183:184], v[12:13], v[40:41]
	v_fma_f64 v[42:43], v[2:3], v[81:82], v[0:1]
	s_waitcnt lgkmcnt(0)
	v_mul_f64 v[0:1], v[87:88], v[83:84]
	v_add_f64 v[185:186], v[12:13], -v[40:41]
	v_add_f64 v[181:182], v[14:15], -v[42:43]
	v_fma_f64 v[76:77], v[85:86], v[81:82], -v[0:1]
	v_mul_f64 v[0:1], v[85:86], v[83:84]
	v_add_f64 v[187:188], v[14:15], v[42:43]
	v_fma_f64 v[78:79], v[87:88], v[81:82], v[0:1]
	s_clause 0x1
	global_load_dwordx4 v[0:3], v80, s[12:13] offset:160
	global_load_dwordx4 v[102:105], v80, s[12:13] offset:176
	ds_read_b128 v[80:83], v142 offset:18304
	ds_read_b128 v[84:87], v142 offset:19136
	s_waitcnt vmcnt(1) lgkmcnt(1)
	v_mul_f64 v[88:89], v[82:83], v[2:3]
	v_fma_f64 v[88:89], v[80:81], v[0:1], -v[88:89]
	v_mul_f64 v[80:81], v[80:81], v[2:3]
	v_add_f64 v[175:176], v[8:9], v[88:89]
	v_fma_f64 v[90:91], v[82:83], v[0:1], v[80:81]
	s_waitcnt lgkmcnt(0)
	v_mul_f64 v[80:81], v[86:87], v[2:3]
	v_mul_f64 v[2:3], v[84:85], v[2:3]
	v_add_f64 v[177:178], v[8:9], -v[88:89]
	v_add_f64 v[173:174], v[10:11], -v[90:91]
	v_fma_f64 v[80:81], v[84:85], v[0:1], -v[80:81]
	v_fma_f64 v[82:83], v[86:87], v[0:1], v[2:3]
	ds_read_b128 v[0:3], v142 offset:19968
	ds_read_b128 v[106:109], v142 offset:20800
	v_add_f64 v[179:180], v[10:11], v[90:91]
	s_waitcnt vmcnt(0) lgkmcnt(1)
	v_mul_f64 v[84:85], v[2:3], v[104:105]
	v_fma_f64 v[92:93], v[0:1], v[102:103], -v[84:85]
	v_mul_f64 v[0:1], v[0:1], v[104:105]
	v_add_f64 v[110:111], v[96:97], v[92:93]
	v_fma_f64 v[94:95], v[2:3], v[102:103], v[0:1]
	s_waitcnt lgkmcnt(0)
	v_mul_f64 v[0:1], v[108:109], v[104:105]
	v_add_f64 v[140:141], v[98:99], v[94:95]
	v_fma_f64 v[84:85], v[106:107], v[102:103], -v[0:1]
	v_mul_f64 v[0:1], v[106:107], v[104:105]
	v_fma_f64 v[86:87], v[108:109], v[102:103], v[0:1]
	v_add_f64 v[0:1], v[98:99], -v[94:95]
	v_mul_f64 v[2:3], v[0:1], s[44:45]
	v_mul_f64 v[102:103], v[0:1], s[22:23]
	;; [unrolled: 1-line block ×6, first 2 shown]
	v_fma_f64 v[118:119], v[110:111], s[4:5], -v[2:3]
	v_fma_f64 v[120:121], v[110:111], s[4:5], v[2:3]
	v_fma_f64 v[122:123], v[110:111], s[6:7], -v[102:103]
	v_fma_f64 v[124:125], v[110:111], s[6:7], v[102:103]
	;; [unrolled: 2-line block ×6, first 2 shown]
	v_add_f64 v[0:1], v[96:97], -v[92:93]
	v_mul_f64 v[2:3], v[0:1], s[44:45]
	v_mul_f64 v[102:103], v[0:1], s[22:23]
	;; [unrolled: 1-line block ×6, first 2 shown]
	v_fma_f64 v[143:144], v[140:141], s[4:5], v[2:3]
	v_fma_f64 v[145:146], v[140:141], s[4:5], -v[2:3]
	v_fma_f64 v[147:148], v[140:141], s[6:7], v[102:103]
	v_fma_f64 v[149:150], v[140:141], s[6:7], -v[102:103]
	;; [unrolled: 2-line block ×6, first 2 shown]
	ds_read_b128 v[102:105], v142
	ds_read_b128 v[0:3], v142 offset:832
	s_waitcnt lgkmcnt(0)
	s_barrier
	buffer_gl0_inv
	v_add_f64 v[161:162], v[102:103], v[96:97]
	v_add_f64 v[163:164], v[104:105], v[98:99]
	;; [unrolled: 1-line block ×21, first 2 shown]
	v_mul_f64 v[102:103], v[173:174], s[22:23]
	v_add_f64 v[136:137], v[104:105], v[136:137]
	v_add_f64 v[157:158], v[104:105], v[157:158]
	;; [unrolled: 1-line block ×8, first 2 shown]
	v_fma_f64 v[104:105], v[175:176], s[6:7], -v[102:103]
	v_fma_f64 v[102:103], v[175:176], s[6:7], v[102:103]
	v_add_f64 v[8:9], v[8:9], v[12:13]
	v_add_f64 v[10:11], v[10:11], v[14:15]
	v_lshrrev_b32_e32 v12, 1, v114
	v_mul_u32_u24_e32 v12, 26, v12
	v_or_b32_e32 v12, v12, v101
	v_add_f64 v[96:97], v[104:105], v[96:97]
	v_mul_f64 v[104:105], v[177:178], s[22:23]
	v_add_f64 v[102:103], v[102:103], v[118:119]
	v_mul_f64 v[118:119], v[173:174], s[18:19]
	v_lshl_add_u32 v12, v12, 4, 0
	v_add_f64 v[8:9], v[8:9], v[16:17]
	v_add_f64 v[10:11], v[10:11], v[18:19]
	v_fma_f64 v[106:107], v[179:180], s[6:7], v[104:105]
	v_fma_f64 v[104:105], v[179:180], s[6:7], -v[104:105]
	v_add_f64 v[8:9], v[8:9], v[20:21]
	v_add_f64 v[10:11], v[10:11], v[22:23]
	;; [unrolled: 1-line block ×4, first 2 shown]
	v_mul_f64 v[106:107], v[181:182], s[26:27]
	v_add_f64 v[104:105], v[104:105], v[120:121]
	v_mul_f64 v[120:121], v[177:178], s[18:19]
	v_add_f64 v[8:9], v[8:9], v[24:25]
	v_add_f64 v[10:11], v[10:11], v[26:27]
	v_fma_f64 v[108:109], v[183:184], s[8:9], -v[106:107]
	v_fma_f64 v[106:107], v[183:184], s[8:9], v[106:107]
	v_add_f64 v[8:9], v[8:9], v[28:29]
	v_add_f64 v[10:11], v[10:11], v[30:31]
	;; [unrolled: 1-line block ×3, first 2 shown]
	v_mul_f64 v[108:109], v[185:186], s[26:27]
	v_add_f64 v[102:103], v[106:107], v[102:103]
	v_add_f64 v[8:9], v[8:9], v[32:33]
	;; [unrolled: 1-line block ×3, first 2 shown]
	v_fma_f64 v[132:133], v[187:188], s[8:9], v[108:109]
	v_fma_f64 v[106:107], v[187:188], s[8:9], -v[108:109]
	v_add_f64 v[8:9], v[8:9], v[36:37]
	v_add_f64 v[10:11], v[10:11], v[38:39]
	;; [unrolled: 1-line block ×3, first 2 shown]
	v_mul_f64 v[132:133], v[189:190], s[18:19]
	v_add_f64 v[104:105], v[106:107], v[104:105]
	v_add_f64 v[8:9], v[8:9], v[40:41]
	;; [unrolled: 1-line block ×3, first 2 shown]
	v_fma_f64 v[134:135], v[191:192], s[14:15], -v[132:133]
	v_fma_f64 v[106:107], v[191:192], s[14:15], v[132:133]
	v_add_f64 v[8:9], v[8:9], v[88:89]
	v_add_f64 v[10:11], v[10:11], v[90:91]
	;; [unrolled: 1-line block ×4, first 2 shown]
	v_mul_f64 v[134:135], v[193:194], s[18:19]
	v_add_f64 v[102:103], v[106:107], v[102:103]
	v_add_f64 v[8:9], v[8:9], v[92:93]
	;; [unrolled: 1-line block ×3, first 2 shown]
	v_fma_f64 v[138:139], v[195:196], s[14:15], v[134:135]
	v_fma_f64 v[106:107], v[195:196], s[14:15], -v[134:135]
	v_add_f64 v[98:99], v[138:139], v[98:99]
	v_mul_f64 v[138:139], v[197:198], s[20:21]
	v_add_f64 v[104:105], v[106:107], v[104:105]
	v_fma_f64 v[140:141], v[199:200], s[16:17], -v[138:139]
	v_fma_f64 v[106:107], v[199:200], s[16:17], v[138:139]
	v_add_f64 v[96:97], v[140:141], v[96:97]
	v_mul_f64 v[140:141], v[201:202], s[20:21]
	v_add_f64 v[102:103], v[106:107], v[102:103]
	v_fma_f64 v[205:206], v[203:204], s[16:17], v[140:141]
	v_fma_f64 v[106:107], v[203:204], s[16:17], -v[140:141]
	v_add_f64 v[98:99], v[205:206], v[98:99]
	v_add_f64 v[205:206], v[26:27], -v[30:31]
	v_add_f64 v[104:105], v[106:107], v[104:105]
	v_mul_f64 v[209:210], v[205:206], s[34:35]
	v_fma_f64 v[211:212], v[207:208], s[24:25], -v[209:210]
	v_fma_f64 v[106:107], v[207:208], s[24:25], v[209:210]
	v_add_f64 v[96:97], v[211:212], v[96:97]
	v_add_f64 v[211:212], v[24:25], -v[28:29]
	v_add_f64 v[102:103], v[106:107], v[102:103]
	v_fma_f64 v[106:107], v[175:176], s[14:15], -v[118:119]
	v_fma_f64 v[118:119], v[175:176], s[14:15], v[118:119]
	v_mul_f64 v[215:216], v[211:212], s[34:35]
	v_add_f64 v[106:107], v[106:107], v[122:123]
	v_mul_f64 v[122:123], v[181:182], s[34:35]
	v_add_f64 v[118:119], v[118:119], v[124:125]
	v_fma_f64 v[108:109], v[213:214], s[24:25], -v[215:216]
	v_fma_f64 v[217:218], v[213:214], s[24:25], v[215:216]
	v_fma_f64 v[132:133], v[183:184], s[24:25], -v[122:123]
	v_fma_f64 v[122:123], v[183:184], s[24:25], v[122:123]
	v_add_f64 v[104:105], v[108:109], v[104:105]
	v_fma_f64 v[108:109], v[179:180], s[14:15], v[120:121]
	v_fma_f64 v[120:121], v[179:180], s[14:15], -v[120:121]
	v_add_f64 v[106:107], v[132:133], v[106:107]
	v_mul_f64 v[132:133], v[185:186], s[34:35]
	v_add_f64 v[118:119], v[122:123], v[118:119]
	v_add_f64 v[98:99], v[217:218], v[98:99]
	;; [unrolled: 1-line block ×4, first 2 shown]
	v_fma_f64 v[134:135], v[187:188], s[24:25], v[132:133]
	v_fma_f64 v[122:123], v[187:188], s[24:25], -v[132:133]
	v_mul_f64 v[132:133], v[173:174], s[34:35]
	v_add_f64 v[108:109], v[134:135], v[108:109]
	v_mul_f64 v[134:135], v[189:190], s[38:39]
	v_add_f64 v[120:121], v[122:123], v[120:121]
	v_fma_f64 v[138:139], v[191:192], s[16:17], -v[134:135]
	v_fma_f64 v[122:123], v[191:192], s[16:17], v[134:135]
	v_mul_f64 v[134:135], v[181:182], s[42:43]
	v_add_f64 v[106:107], v[138:139], v[106:107]
	v_mul_f64 v[138:139], v[193:194], s[38:39]
	v_add_f64 v[118:119], v[122:123], v[118:119]
	v_fma_f64 v[140:141], v[195:196], s[16:17], v[138:139]
	v_fma_f64 v[122:123], v[195:196], s[16:17], -v[138:139]
	v_fma_f64 v[138:139], v[183:184], s[14:15], -v[134:135]
	v_add_f64 v[108:109], v[140:141], v[108:109]
	v_mul_f64 v[140:141], v[197:198], s[28:29]
	v_add_f64 v[120:121], v[122:123], v[120:121]
	v_fma_f64 v[143:144], v[199:200], s[8:9], -v[140:141]
	v_fma_f64 v[122:123], v[199:200], s[8:9], v[140:141]
	v_add_f64 v[106:107], v[143:144], v[106:107]
	v_mul_f64 v[143:144], v[201:202], s[28:29]
	v_add_f64 v[118:119], v[122:123], v[118:119]
	v_fma_f64 v[209:210], v[203:204], s[8:9], v[143:144]
	v_fma_f64 v[122:123], v[203:204], s[8:9], -v[143:144]
	v_add_f64 v[108:109], v[209:210], v[108:109]
	v_mul_f64 v[209:210], v[205:206], s[30:31]
	v_add_f64 v[120:121], v[122:123], v[120:121]
	v_fma_f64 v[215:216], v[207:208], s[4:5], -v[209:210]
	v_fma_f64 v[122:123], v[207:208], s[4:5], v[209:210]
	v_add_f64 v[106:107], v[215:216], v[106:107]
	v_mul_f64 v[215:216], v[211:212], s[30:31]
	v_add_f64 v[118:119], v[122:123], v[118:119]
	v_fma_f64 v[122:123], v[175:176], s[24:25], -v[132:133]
	v_fma_f64 v[132:133], v[175:176], s[24:25], v[132:133]
	v_fma_f64 v[124:125], v[213:214], s[4:5], -v[215:216]
	v_fma_f64 v[217:218], v[213:214], s[4:5], v[215:216]
	v_add_f64 v[122:123], v[122:123], v[126:127]
	v_mul_f64 v[126:127], v[177:178], s[34:35]
	v_add_f64 v[128:129], v[132:133], v[128:129]
	v_fma_f64 v[132:133], v[183:184], s[14:15], v[134:135]
	v_add_f64 v[120:121], v[124:125], v[120:121]
	v_add_f64 v[108:109], v[217:218], v[108:109]
	;; [unrolled: 1-line block ×3, first 2 shown]
	v_fma_f64 v[124:125], v[179:180], s[24:25], v[126:127]
	v_mul_f64 v[138:139], v[185:186], s[42:43]
	v_fma_f64 v[126:127], v[179:180], s[24:25], -v[126:127]
	v_add_f64 v[128:129], v[132:133], v[128:129]
	v_add_f64 v[124:125], v[124:125], v[147:148]
	v_fma_f64 v[140:141], v[187:188], s[14:15], v[138:139]
	v_add_f64 v[126:127], v[126:127], v[149:150]
	v_fma_f64 v[132:133], v[187:188], s[14:15], -v[138:139]
	v_mul_f64 v[138:139], v[177:178], s[38:39]
	v_add_f64 v[124:125], v[140:141], v[124:125]
	v_mul_f64 v[140:141], v[189:190], s[30:31]
	v_add_f64 v[126:127], v[132:133], v[126:127]
	v_fma_f64 v[143:144], v[191:192], s[4:5], -v[140:141]
	v_fma_f64 v[132:133], v[191:192], s[4:5], v[140:141]
	v_mul_f64 v[140:141], v[181:182], s[30:31]
	v_add_f64 v[122:123], v[143:144], v[122:123]
	v_mul_f64 v[143:144], v[193:194], s[30:31]
	v_add_f64 v[128:129], v[132:133], v[128:129]
	v_fma_f64 v[145:146], v[195:196], s[4:5], v[143:144]
	v_fma_f64 v[132:133], v[195:196], s[4:5], -v[143:144]
	v_fma_f64 v[143:144], v[183:184], s[4:5], -v[140:141]
	v_add_f64 v[124:125], v[145:146], v[124:125]
	v_mul_f64 v[145:146], v[197:198], s[22:23]
	v_add_f64 v[126:127], v[132:133], v[126:127]
	v_fma_f64 v[147:148], v[199:200], s[6:7], -v[145:146]
	v_fma_f64 v[132:133], v[199:200], s[6:7], v[145:146]
	v_add_f64 v[122:123], v[147:148], v[122:123]
	v_mul_f64 v[147:148], v[201:202], s[22:23]
	v_add_f64 v[128:129], v[132:133], v[128:129]
	v_fma_f64 v[209:210], v[203:204], s[6:7], v[147:148]
	v_fma_f64 v[132:133], v[203:204], s[6:7], -v[147:148]
	v_add_f64 v[124:125], v[209:210], v[124:125]
	v_mul_f64 v[209:210], v[205:206], s[20:21]
	v_add_f64 v[132:133], v[132:133], v[126:127]
	v_fma_f64 v[215:216], v[207:208], s[16:17], -v[209:210]
	v_fma_f64 v[126:127], v[207:208], s[16:17], v[209:210]
	v_add_f64 v[122:123], v[215:216], v[122:123]
	v_mul_f64 v[215:216], v[211:212], s[20:21]
	v_add_f64 v[126:127], v[126:127], v[128:129]
	v_fma_f64 v[134:135], v[213:214], s[16:17], -v[215:216]
	v_fma_f64 v[217:218], v[213:214], s[16:17], v[215:216]
	;; [unrolled: 5-line block ×3, first 2 shown]
	v_add_f64 v[130:131], v[132:133], v[130:131]
	v_fma_f64 v[132:133], v[179:180], s[16:17], v[138:139]
	v_fma_f64 v[138:139], v[179:180], s[16:17], -v[138:139]
	v_add_f64 v[134:135], v[134:135], v[153:154]
	v_add_f64 v[130:131], v[143:144], v[130:131]
	v_mul_f64 v[143:144], v[185:186], s[30:31]
	v_add_f64 v[132:133], v[132:133], v[151:152]
	v_add_f64 v[136:137], v[138:139], v[136:137]
	v_fma_f64 v[138:139], v[183:184], s[4:5], v[140:141]
	v_fma_f64 v[145:146], v[187:188], s[4:5], v[143:144]
	v_add_f64 v[134:135], v[138:139], v[134:135]
	v_fma_f64 v[138:139], v[187:188], s[4:5], -v[143:144]
	v_mul_f64 v[143:144], v[173:174], s[28:29]
	v_add_f64 v[132:133], v[145:146], v[132:133]
	v_mul_f64 v[145:146], v[189:190], s[26:27]
	v_add_f64 v[136:137], v[138:139], v[136:137]
	v_fma_f64 v[147:148], v[191:192], s[8:9], -v[145:146]
	v_fma_f64 v[138:139], v[191:192], s[8:9], v[145:146]
	v_mul_f64 v[145:146], v[177:178], s[28:29]
	v_add_f64 v[130:131], v[147:148], v[130:131]
	v_mul_f64 v[147:148], v[193:194], s[26:27]
	v_add_f64 v[134:135], v[138:139], v[134:135]
	v_fma_f64 v[149:150], v[195:196], s[8:9], v[147:148]
	v_fma_f64 v[138:139], v[195:196], s[8:9], -v[147:148]
	v_mul_f64 v[147:148], v[181:182], s[22:23]
	v_add_f64 v[132:133], v[149:150], v[132:133]
	v_mul_f64 v[149:150], v[197:198], s[40:41]
	v_add_f64 v[136:137], v[138:139], v[136:137]
	v_fma_f64 v[151:152], v[199:200], s[24:25], -v[149:150]
	v_fma_f64 v[138:139], v[199:200], s[24:25], v[149:150]
	v_fma_f64 v[149:150], v[183:184], s[6:7], -v[147:148]
	v_fma_f64 v[147:148], v[183:184], s[6:7], v[147:148]
	v_add_f64 v[130:131], v[151:152], v[130:131]
	v_mul_f64 v[151:152], v[201:202], s[40:41]
	v_add_f64 v[134:135], v[138:139], v[134:135]
	v_fma_f64 v[209:210], v[203:204], s[24:25], v[151:152]
	v_fma_f64 v[138:139], v[203:204], s[24:25], -v[151:152]
	v_add_f64 v[132:133], v[209:210], v[132:133]
	v_mul_f64 v[209:210], v[205:206], s[36:37]
	v_add_f64 v[136:137], v[138:139], v[136:137]
	v_fma_f64 v[215:216], v[207:208], s[6:7], -v[209:210]
	v_fma_f64 v[138:139], v[207:208], s[6:7], v[209:210]
	v_add_f64 v[130:131], v[215:216], v[130:131]
	v_mul_f64 v[215:216], v[211:212], s[36:37]
	v_add_f64 v[134:135], v[138:139], v[134:135]
	v_fma_f64 v[138:139], v[175:176], s[8:9], -v[143:144]
	v_fma_f64 v[143:144], v[175:176], s[8:9], v[143:144]
	v_fma_f64 v[140:141], v[213:214], s[6:7], -v[215:216]
	v_fma_f64 v[217:218], v[213:214], s[6:7], v[215:216]
	v_add_f64 v[138:139], v[138:139], v[155:156]
	v_add_f64 v[143:144], v[143:144], v[165:166]
	v_add_f64 v[136:137], v[140:141], v[136:137]
	v_fma_f64 v[140:141], v[179:180], s[8:9], v[145:146]
	v_add_f64 v[138:139], v[149:150], v[138:139]
	v_mul_f64 v[149:150], v[185:186], s[22:23]
	v_fma_f64 v[145:146], v[179:180], s[8:9], -v[145:146]
	v_add_f64 v[143:144], v[147:148], v[143:144]
	v_add_f64 v[132:133], v[217:218], v[132:133]
	;; [unrolled: 1-line block ×3, first 2 shown]
	v_fma_f64 v[151:152], v[187:188], s[6:7], v[149:150]
	v_add_f64 v[145:146], v[145:146], v[167:168]
	v_fma_f64 v[147:148], v[187:188], s[6:7], -v[149:150]
	v_add_f64 v[140:141], v[151:152], v[140:141]
	v_mul_f64 v[151:152], v[189:190], s[40:41]
	v_add_f64 v[145:146], v[147:148], v[145:146]
	v_fma_f64 v[153:154], v[191:192], s[24:25], -v[151:152]
	v_fma_f64 v[147:148], v[191:192], s[24:25], v[151:152]
	v_mul_f64 v[151:152], v[173:174], s[30:31]
	v_add_f64 v[138:139], v[153:154], v[138:139]
	v_mul_f64 v[153:154], v[193:194], s[40:41]
	v_add_f64 v[143:144], v[147:148], v[143:144]
	v_fma_f64 v[155:156], v[195:196], s[24:25], v[153:154]
	v_fma_f64 v[147:148], v[195:196], s[24:25], -v[153:154]
	v_mul_f64 v[153:154], v[177:178], s[30:31]
	v_mul_f64 v[177:178], v[211:212], s[28:29]
	v_add_f64 v[140:141], v[155:156], v[140:141]
	v_mul_f64 v[155:156], v[197:198], s[30:31]
	v_add_f64 v[145:146], v[147:148], v[145:146]
	v_fma_f64 v[157:158], v[199:200], s[4:5], -v[155:156]
	v_fma_f64 v[147:148], v[199:200], s[4:5], v[155:156]
	v_mul_f64 v[155:156], v[181:182], s[20:21]
	v_add_f64 v[138:139], v[157:158], v[138:139]
	v_mul_f64 v[157:158], v[201:202], s[30:31]
	v_add_f64 v[143:144], v[147:148], v[143:144]
	v_fma_f64 v[209:210], v[203:204], s[4:5], v[157:158]
	v_fma_f64 v[147:148], v[203:204], s[4:5], -v[157:158]
	v_fma_f64 v[157:158], v[183:184], s[16:17], -v[155:156]
	v_fma_f64 v[155:156], v[183:184], s[16:17], v[155:156]
	v_add_f64 v[140:141], v[209:210], v[140:141]
	v_mul_f64 v[209:210], v[205:206], s[18:19]
	v_add_f64 v[145:146], v[147:148], v[145:146]
	v_fma_f64 v[215:216], v[207:208], s[14:15], -v[209:210]
	v_fma_f64 v[147:148], v[207:208], s[14:15], v[209:210]
	v_add_f64 v[138:139], v[215:216], v[138:139]
	v_mul_f64 v[215:216], v[211:212], s[18:19]
	v_add_f64 v[143:144], v[147:148], v[143:144]
	v_fma_f64 v[147:148], v[175:176], s[4:5], -v[151:152]
	v_fma_f64 v[151:152], v[175:176], s[4:5], v[151:152]
	v_fma_f64 v[149:150], v[213:214], s[14:15], -v[215:216]
	v_fma_f64 v[217:218], v[213:214], s[14:15], v[215:216]
	v_add_f64 v[147:148], v[147:148], v[169:170]
	v_add_f64 v[110:111], v[151:152], v[110:111]
	v_add_f64 v[145:146], v[149:150], v[145:146]
	v_fma_f64 v[149:150], v[179:180], s[4:5], v[153:154]
	v_add_f64 v[147:148], v[157:158], v[147:148]
	v_mul_f64 v[157:158], v[185:186], s[20:21]
	v_fma_f64 v[153:154], v[179:180], s[4:5], -v[153:154]
	v_add_f64 v[110:111], v[155:156], v[110:111]
	v_add_f64 v[140:141], v[217:218], v[140:141]
	;; [unrolled: 1-line block ×3, first 2 shown]
	v_fma_f64 v[159:160], v[187:188], s[16:17], v[157:158]
	v_fma_f64 v[157:158], v[187:188], s[16:17], -v[157:158]
	v_add_f64 v[151:152], v[153:154], v[171:172]
	v_add_f64 v[149:150], v[159:160], v[149:150]
	v_mul_f64 v[159:160], v[189:190], s[36:37]
	v_add_f64 v[151:152], v[157:158], v[151:152]
	v_fma_f64 v[165:166], v[191:192], s[6:7], -v[159:160]
	v_fma_f64 v[153:154], v[191:192], s[6:7], v[159:160]
	v_add_f64 v[147:148], v[165:166], v[147:148]
	v_mul_f64 v[165:166], v[193:194], s[36:37]
	v_add_f64 v[110:111], v[153:154], v[110:111]
	v_fma_f64 v[167:168], v[195:196], s[6:7], v[165:166]
	v_fma_f64 v[159:160], v[195:196], s[6:7], -v[165:166]
	v_add_f64 v[149:150], v[167:168], v[149:150]
	v_mul_f64 v[167:168], v[197:198], s[18:19]
	v_add_f64 v[151:152], v[159:160], v[151:152]
	v_fma_f64 v[159:160], v[213:214], s[8:9], -v[177:178]
	v_fma_f64 v[169:170], v[199:200], s[14:15], -v[167:168]
	v_fma_f64 v[155:156], v[199:200], s[14:15], v[167:168]
	v_add_f64 v[147:148], v[169:170], v[147:148]
	v_mul_f64 v[169:170], v[201:202], s[18:19]
	v_add_f64 v[110:111], v[155:156], v[110:111]
	v_fma_f64 v[173:174], v[203:204], s[14:15], v[169:170]
	v_fma_f64 v[157:158], v[203:204], s[14:15], -v[169:170]
	v_add_f64 v[149:150], v[173:174], v[149:150]
	v_mul_f64 v[173:174], v[205:206], s[28:29]
	v_add_f64 v[155:156], v[157:158], v[151:152]
	v_add_f64 v[157:158], v[60:61], v[64:65]
	v_fma_f64 v[181:182], v[207:208], s[8:9], -v[173:174]
	v_fma_f64 v[153:154], v[207:208], s[8:9], v[173:174]
	v_add_f64 v[147:148], v[181:182], v[147:148]
	v_fma_f64 v[181:182], v[213:214], s[8:9], v[177:178]
	v_add_f64 v[151:152], v[153:154], v[110:111]
	v_add_f64 v[153:154], v[159:160], v[155:156]
	v_add_f64 v[155:156], v[62:63], -v[66:67]
	v_add_f64 v[149:150], v[181:182], v[149:150]
	ds_write_b128 v12, v[96:99] offset:32
	ds_write_b128 v12, v[106:109] offset:64
	;; [unrolled: 1-line block ×12, first 2 shown]
	ds_write_b128 v12, v[8:11]
	v_add_f64 v[8:9], v[6:7], -v[86:87]
	v_add_f64 v[122:123], v[46:47], -v[82:83]
	v_add_f64 v[124:125], v[44:45], v[80:81]
	v_add_f64 v[104:105], v[2:3], v[6:7]
	v_add_f64 v[126:127], v[44:45], -v[80:81]
	v_add_f64 v[128:129], v[46:47], v[82:83]
	v_add_f64 v[130:131], v[50:51], -v[78:79]
	;; [unrolled: 2-line block ×7, first 2 shown]
	v_add_f64 v[153:154], v[58:59], v[70:71]
	v_mul_f64 v[10:11], v[8:9], s[44:45]
	v_mul_f64 v[12:13], v[8:9], s[22:23]
	;; [unrolled: 1-line block ×6, first 2 shown]
	v_add_f64 v[46:47], v[104:105], v[46:47]
	v_fma_f64 v[22:23], v[20:21], s[4:5], -v[10:11]
	v_fma_f64 v[10:11], v[20:21], s[4:5], v[10:11]
	v_fma_f64 v[24:25], v[20:21], s[6:7], -v[12:13]
	v_fma_f64 v[12:13], v[20:21], s[6:7], v[12:13]
	;; [unrolled: 2-line block ×6, first 2 shown]
	v_add_f64 v[20:21], v[4:5], -v[84:85]
	v_add_f64 v[46:47], v[46:47], v[50:51]
	v_add_f64 v[10:11], v[0:1], v[10:11]
	;; [unrolled: 1-line block ×10, first 2 shown]
	v_mul_f64 v[34:35], v[20:21], s[44:45]
	v_mul_f64 v[36:37], v[20:21], s[22:23]
	;; [unrolled: 1-line block ×7, first 2 shown]
	v_add_f64 v[46:47], v[46:47], v[54:55]
	v_fma_f64 v[90:91], v[88:89], s[4:5], v[34:35]
	v_fma_f64 v[34:35], v[88:89], s[4:5], -v[34:35]
	v_fma_f64 v[92:93], v[88:89], s[6:7], v[36:37]
	v_fma_f64 v[94:95], v[88:89], s[8:9], v[38:39]
	;; [unrolled: 1-line block ×3, first 2 shown]
	v_fma_f64 v[36:37], v[88:89], s[6:7], -v[36:37]
	v_fma_f64 v[38:39], v[88:89], s[8:9], -v[38:39]
	;; [unrolled: 1-line block ×3, first 2 shown]
	v_fma_f64 v[98:99], v[88:89], s[16:17], v[42:43]
	v_fma_f64 v[42:43], v[88:89], s[16:17], -v[42:43]
	v_fma_f64 v[102:103], v[88:89], s[24:25], v[20:21]
	v_fma_f64 v[20:21], v[88:89], s[24:25], -v[20:21]
	v_add_f64 v[88:89], v[0:1], v[4:5]
	v_add_f64 v[4:5], v[0:1], v[22:23]
	;; [unrolled: 1-line block ×10, first 2 shown]
	v_fma_f64 v[0:1], v[124:125], s[6:7], -v[8:9]
	v_add_f64 v[36:37], v[2:3], v[36:37]
	v_add_f64 v[38:39], v[2:3], v[38:39]
	;; [unrolled: 1-line block ×7, first 2 shown]
	v_fma_f64 v[8:9], v[124:125], s[6:7], v[8:9]
	v_add_f64 v[44:45], v[88:89], v[44:45]
	v_add_f64 v[46:47], v[46:47], v[62:63]
	;; [unrolled: 1-line block ×3, first 2 shown]
	v_mul_f64 v[4:5], v[126:127], s[22:23]
	v_add_f64 v[8:9], v[8:9], v[10:11]
	v_add_f64 v[44:45], v[44:45], v[48:49]
	;; [unrolled: 1-line block ×3, first 2 shown]
	v_fma_f64 v[2:3], v[128:129], s[6:7], v[4:5]
	v_fma_f64 v[4:5], v[128:129], s[6:7], -v[4:5]
	v_add_f64 v[44:45], v[44:45], v[52:53]
	v_add_f64 v[46:47], v[46:47], v[70:71]
	;; [unrolled: 1-line block ×3, first 2 shown]
	v_mul_f64 v[6:7], v[130:131], s[26:27]
	v_add_f64 v[4:5], v[4:5], v[22:23]
	v_add_f64 v[44:45], v[44:45], v[56:57]
	;; [unrolled: 1-line block ×3, first 2 shown]
	v_fma_f64 v[14:15], v[132:133], s[8:9], -v[6:7]
	v_fma_f64 v[6:7], v[132:133], s[8:9], v[6:7]
	v_add_f64 v[44:45], v[44:45], v[60:61]
	v_add_f64 v[46:47], v[46:47], v[78:79]
	;; [unrolled: 1-line block ×3, first 2 shown]
	v_mul_f64 v[14:15], v[134:135], s[26:27]
	v_add_f64 v[6:7], v[6:7], v[8:9]
	v_add_f64 v[44:45], v[44:45], v[64:65]
	;; [unrolled: 1-line block ×3, first 2 shown]
	v_fma_f64 v[16:17], v[136:137], s[8:9], v[14:15]
	v_fma_f64 v[8:9], v[136:137], s[8:9], -v[14:15]
	v_mul_f64 v[14:15], v[122:123], s[18:19]
	v_add_f64 v[44:45], v[44:45], v[68:69]
	v_add_f64 v[50:51], v[46:47], v[86:87]
	;; [unrolled: 1-line block ×3, first 2 shown]
	v_mul_f64 v[16:17], v[138:139], s[18:19]
	v_add_f64 v[4:5], v[8:9], v[4:5]
	v_add_f64 v[44:45], v[44:45], v[72:73]
	v_fma_f64 v[18:19], v[140:141], s[14:15], -v[16:17]
	v_fma_f64 v[8:9], v[140:141], s[14:15], v[16:17]
	v_mul_f64 v[16:17], v[126:127], s[18:19]
	v_add_f64 v[44:45], v[44:45], v[76:77]
	v_add_f64 v[0:1], v[18:19], v[0:1]
	v_mul_f64 v[18:19], v[143:144], s[18:19]
	v_add_f64 v[6:7], v[8:9], v[6:7]
	v_add_f64 v[44:45], v[44:45], v[80:81]
	v_fma_f64 v[20:21], v[145:146], s[14:15], v[18:19]
	v_fma_f64 v[8:9], v[145:146], s[14:15], -v[18:19]
	v_mul_f64 v[18:19], v[130:131], s[34:35]
	v_add_f64 v[48:49], v[44:45], v[84:85]
	v_add_f64 v[2:3], v[20:21], v[2:3]
	v_mul_f64 v[20:21], v[147:148], s[20:21]
	v_add_f64 v[4:5], v[8:9], v[4:5]
	v_fma_f64 v[30:31], v[149:150], s[16:17], -v[20:21]
	v_fma_f64 v[8:9], v[149:150], s[16:17], v[20:21]
	v_fma_f64 v[20:21], v[132:133], s[24:25], -v[18:19]
	v_add_f64 v[0:1], v[30:31], v[0:1]
	v_mul_f64 v[30:31], v[151:152], s[20:21]
	v_add_f64 v[6:7], v[8:9], v[6:7]
	v_fma_f64 v[32:33], v[153:154], s[16:17], v[30:31]
	v_fma_f64 v[8:9], v[153:154], s[16:17], -v[30:31]
	v_add_f64 v[2:3], v[32:33], v[2:3]
	v_mul_f64 v[32:33], v[155:156], s[34:35]
	v_add_f64 v[8:9], v[8:9], v[4:5]
	v_fma_f64 v[159:160], v[157:158], s[24:25], -v[32:33]
	v_fma_f64 v[4:5], v[157:158], s[24:25], v[32:33]
	v_add_f64 v[0:1], v[159:160], v[0:1]
	v_add_f64 v[159:160], v[60:61], -v[64:65]
	v_add_f64 v[4:5], v[4:5], v[6:7]
	v_mul_f64 v[163:164], v[159:160], s[34:35]
	v_fma_f64 v[10:11], v[161:162], s[24:25], -v[163:164]
	v_fma_f64 v[165:166], v[161:162], s[24:25], v[163:164]
	v_add_f64 v[6:7], v[10:11], v[8:9]
	v_fma_f64 v[8:9], v[124:125], s[14:15], -v[14:15]
	v_fma_f64 v[10:11], v[128:129], s[14:15], v[16:17]
	v_fma_f64 v[14:15], v[124:125], s[14:15], v[14:15]
	v_add_f64 v[2:3], v[165:166], v[2:3]
	v_add_f64 v[8:9], v[8:9], v[24:25]
	;; [unrolled: 1-line block ×4, first 2 shown]
	v_fma_f64 v[14:15], v[128:129], s[14:15], -v[16:17]
	v_fma_f64 v[16:17], v[132:133], s[24:25], v[18:19]
	v_add_f64 v[8:9], v[20:21], v[8:9]
	v_mul_f64 v[20:21], v[134:135], s[34:35]
	v_add_f64 v[14:15], v[14:15], v[36:37]
	v_add_f64 v[12:13], v[16:17], v[12:13]
	v_fma_f64 v[22:23], v[136:137], s[24:25], v[20:21]
	v_fma_f64 v[16:17], v[136:137], s[24:25], -v[20:21]
	v_mul_f64 v[20:21], v[122:123], s[34:35]
	v_add_f64 v[10:11], v[22:23], v[10:11]
	v_mul_f64 v[22:23], v[138:139], s[38:39]
	v_add_f64 v[14:15], v[16:17], v[14:15]
	v_fma_f64 v[24:25], v[140:141], s[16:17], -v[22:23]
	v_fma_f64 v[16:17], v[140:141], s[16:17], v[22:23]
	v_mul_f64 v[22:23], v[126:127], s[34:35]
	v_add_f64 v[8:9], v[24:25], v[8:9]
	v_mul_f64 v[24:25], v[143:144], s[38:39]
	v_add_f64 v[12:13], v[16:17], v[12:13]
	v_fma_f64 v[30:31], v[145:146], s[16:17], v[24:25]
	v_fma_f64 v[16:17], v[145:146], s[16:17], -v[24:25]
	v_mul_f64 v[24:25], v[130:131], s[42:43]
	v_add_f64 v[10:11], v[30:31], v[10:11]
	v_mul_f64 v[30:31], v[147:148], s[28:29]
	v_add_f64 v[14:15], v[16:17], v[14:15]
	v_fma_f64 v[32:33], v[149:150], s[8:9], -v[30:31]
	v_fma_f64 v[16:17], v[149:150], s[8:9], v[30:31]
	v_add_f64 v[8:9], v[32:33], v[8:9]
	v_mul_f64 v[32:33], v[151:152], s[28:29]
	v_add_f64 v[12:13], v[16:17], v[12:13]
	v_fma_f64 v[34:35], v[153:154], s[8:9], v[32:33]
	v_fma_f64 v[16:17], v[153:154], s[8:9], -v[32:33]
	v_add_f64 v[10:11], v[34:35], v[10:11]
	v_mul_f64 v[34:35], v[155:156], s[30:31]
	v_add_f64 v[14:15], v[16:17], v[14:15]
	v_fma_f64 v[163:164], v[157:158], s[4:5], -v[34:35]
	v_fma_f64 v[16:17], v[157:158], s[4:5], v[34:35]
	v_add_f64 v[8:9], v[163:164], v[8:9]
	v_mul_f64 v[163:164], v[159:160], s[30:31]
	v_add_f64 v[12:13], v[16:17], v[12:13]
	v_fma_f64 v[16:17], v[124:125], s[24:25], -v[20:21]
	v_fma_f64 v[20:21], v[124:125], s[24:25], v[20:21]
	v_fma_f64 v[18:19], v[161:162], s[4:5], -v[163:164]
	v_fma_f64 v[165:166], v[161:162], s[4:5], v[163:164]
	v_add_f64 v[16:17], v[16:17], v[26:27]
	v_fma_f64 v[26:27], v[132:133], s[14:15], -v[24:25]
	v_add_f64 v[20:21], v[20:21], v[92:93]
	v_fma_f64 v[24:25], v[132:133], s[14:15], v[24:25]
	v_add_f64 v[14:15], v[18:19], v[14:15]
	v_fma_f64 v[18:19], v[128:129], s[24:25], v[22:23]
	v_fma_f64 v[22:23], v[128:129], s[24:25], -v[22:23]
	v_add_f64 v[16:17], v[26:27], v[16:17]
	v_mul_f64 v[26:27], v[134:135], s[42:43]
	v_add_f64 v[20:21], v[24:25], v[20:21]
	v_add_f64 v[10:11], v[165:166], v[10:11]
	;; [unrolled: 1-line block ×4, first 2 shown]
	v_fma_f64 v[30:31], v[136:137], s[14:15], v[26:27]
	v_fma_f64 v[24:25], v[136:137], s[14:15], -v[26:27]
	v_add_f64 v[18:19], v[30:31], v[18:19]
	v_mul_f64 v[30:31], v[138:139], s[30:31]
	v_add_f64 v[22:23], v[24:25], v[22:23]
	v_fma_f64 v[32:33], v[140:141], s[4:5], -v[30:31]
	v_fma_f64 v[24:25], v[140:141], s[4:5], v[30:31]
	v_mul_f64 v[30:31], v[122:123], s[38:39]
	v_add_f64 v[16:17], v[32:33], v[16:17]
	v_mul_f64 v[32:33], v[143:144], s[30:31]
	v_add_f64 v[20:21], v[24:25], v[20:21]
	v_fma_f64 v[34:35], v[145:146], s[4:5], v[32:33]
	v_fma_f64 v[24:25], v[145:146], s[4:5], -v[32:33]
	v_mul_f64 v[32:33], v[130:131], s[30:31]
	v_add_f64 v[18:19], v[34:35], v[18:19]
	v_mul_f64 v[34:35], v[147:148], s[22:23]
	v_add_f64 v[22:23], v[24:25], v[22:23]
	v_fma_f64 v[36:37], v[149:150], s[6:7], -v[34:35]
	v_fma_f64 v[24:25], v[149:150], s[6:7], v[34:35]
	v_fma_f64 v[34:35], v[132:133], s[4:5], -v[32:33]
	v_fma_f64 v[32:33], v[132:133], s[4:5], v[32:33]
	v_add_f64 v[16:17], v[36:37], v[16:17]
	v_mul_f64 v[36:37], v[151:152], s[22:23]
	v_add_f64 v[20:21], v[24:25], v[20:21]
	v_fma_f64 v[90:91], v[153:154], s[6:7], v[36:37]
	v_fma_f64 v[24:25], v[153:154], s[6:7], -v[36:37]
	v_add_f64 v[18:19], v[90:91], v[18:19]
	v_mul_f64 v[90:91], v[155:156], s[20:21]
	v_add_f64 v[22:23], v[24:25], v[22:23]
	v_fma_f64 v[163:164], v[157:158], s[16:17], -v[90:91]
	v_fma_f64 v[24:25], v[157:158], s[16:17], v[90:91]
	v_add_f64 v[16:17], v[163:164], v[16:17]
	v_mul_f64 v[163:164], v[159:160], s[20:21]
	v_add_f64 v[20:21], v[24:25], v[20:21]
	v_fma_f64 v[24:25], v[124:125], s[16:17], -v[30:31]
	v_fma_f64 v[30:31], v[124:125], s[16:17], v[30:31]
	v_fma_f64 v[26:27], v[161:162], s[16:17], -v[163:164]
	v_fma_f64 v[165:166], v[161:162], s[16:17], v[163:164]
	v_add_f64 v[24:25], v[24:25], v[28:29]
	v_mul_f64 v[28:29], v[126:127], s[38:39]
	v_add_f64 v[30:31], v[30:31], v[96:97]
	v_add_f64 v[22:23], v[26:27], v[22:23]
	;; [unrolled: 1-line block ×4, first 2 shown]
	v_fma_f64 v[26:27], v[128:129], s[16:17], v[28:29]
	v_mul_f64 v[34:35], v[134:135], s[30:31]
	v_fma_f64 v[28:29], v[128:129], s[16:17], -v[28:29]
	v_add_f64 v[30:31], v[32:33], v[30:31]
	v_add_f64 v[26:27], v[26:27], v[94:95]
	v_fma_f64 v[36:37], v[136:137], s[4:5], v[34:35]
	v_add_f64 v[28:29], v[28:29], v[40:41]
	v_fma_f64 v[32:33], v[136:137], s[4:5], -v[34:35]
	v_mul_f64 v[40:41], v[130:131], s[22:23]
	v_add_f64 v[26:27], v[36:37], v[26:27]
	v_mul_f64 v[36:37], v[138:139], s[26:27]
	v_add_f64 v[28:29], v[32:33], v[28:29]
	v_fma_f64 v[38:39], v[140:141], s[8:9], -v[36:37]
	v_fma_f64 v[32:33], v[140:141], s[8:9], v[36:37]
	v_mul_f64 v[36:37], v[122:123], s[28:29]
	v_add_f64 v[24:25], v[38:39], v[24:25]
	v_mul_f64 v[38:39], v[143:144], s[26:27]
	v_add_f64 v[30:31], v[32:33], v[30:31]
	v_fma_f64 v[90:91], v[145:146], s[8:9], v[38:39]
	v_fma_f64 v[32:33], v[145:146], s[8:9], -v[38:39]
	v_mul_f64 v[38:39], v[126:127], s[28:29]
	v_add_f64 v[26:27], v[90:91], v[26:27]
	v_mul_f64 v[90:91], v[147:148], s[40:41]
	v_add_f64 v[28:29], v[32:33], v[28:29]
	v_fma_f64 v[92:93], v[149:150], s[24:25], -v[90:91]
	v_fma_f64 v[32:33], v[149:150], s[24:25], v[90:91]
	v_fma_f64 v[90:91], v[132:133], s[6:7], -v[40:41]
	v_fma_f64 v[40:41], v[132:133], s[6:7], v[40:41]
	v_add_f64 v[24:25], v[92:93], v[24:25]
	v_mul_f64 v[92:93], v[151:152], s[40:41]
	v_add_f64 v[30:31], v[32:33], v[30:31]
	v_fma_f64 v[94:95], v[153:154], s[24:25], v[92:93]
	v_fma_f64 v[32:33], v[153:154], s[24:25], -v[92:93]
	v_add_f64 v[26:27], v[94:95], v[26:27]
	v_mul_f64 v[94:95], v[155:156], s[36:37]
	v_add_f64 v[32:33], v[32:33], v[28:29]
	v_fma_f64 v[163:164], v[157:158], s[6:7], -v[94:95]
	v_fma_f64 v[28:29], v[157:158], s[6:7], v[94:95]
	v_add_f64 v[24:25], v[163:164], v[24:25]
	v_mul_f64 v[163:164], v[159:160], s[36:37]
	v_add_f64 v[28:29], v[28:29], v[30:31]
	v_fma_f64 v[34:35], v[161:162], s[6:7], -v[163:164]
	v_fma_f64 v[165:166], v[161:162], s[6:7], v[163:164]
	v_add_f64 v[30:31], v[34:35], v[32:33]
	v_fma_f64 v[32:33], v[124:125], s[8:9], -v[36:37]
	v_fma_f64 v[34:35], v[128:129], s[8:9], v[38:39]
	v_fma_f64 v[36:37], v[124:125], s[8:9], v[36:37]
	v_fma_f64 v[38:39], v[128:129], s[8:9], -v[38:39]
	v_add_f64 v[26:27], v[165:166], v[26:27]
	v_add_f64 v[32:33], v[32:33], v[106:107]
	v_add_f64 v[34:35], v[34:35], v[98:99]
	v_add_f64 v[36:37], v[36:37], v[108:109]
	v_add_f64 v[38:39], v[38:39], v[42:43]
	v_add_f64 v[32:33], v[90:91], v[32:33]
	v_mul_f64 v[90:91], v[134:135], s[22:23]
	v_add_f64 v[36:37], v[40:41], v[36:37]
	v_fma_f64 v[92:93], v[136:137], s[6:7], v[90:91]
	v_fma_f64 v[40:41], v[136:137], s[6:7], -v[90:91]
	v_mul_f64 v[90:91], v[122:123], s[30:31]
	v_mul_f64 v[122:123], v[159:160], s[28:29]
	v_add_f64 v[34:35], v[92:93], v[34:35]
	v_mul_f64 v[92:93], v[138:139], s[40:41]
	v_add_f64 v[38:39], v[40:41], v[38:39]
	v_fma_f64 v[44:45], v[124:125], s[4:5], v[90:91]
	v_fma_f64 v[94:95], v[140:141], s[24:25], -v[92:93]
	v_fma_f64 v[40:41], v[140:141], s[24:25], v[92:93]
	v_mul_f64 v[92:93], v[126:127], s[30:31]
	v_add_f64 v[44:45], v[44:45], v[118:119]
	v_add_f64 v[32:33], v[94:95], v[32:33]
	v_mul_f64 v[94:95], v[143:144], s[40:41]
	v_add_f64 v[36:37], v[40:41], v[36:37]
	v_fma_f64 v[46:47], v[128:129], s[4:5], -v[92:93]
	v_fma_f64 v[96:97], v[145:146], s[24:25], v[94:95]
	v_fma_f64 v[40:41], v[145:146], s[24:25], -v[94:95]
	v_mul_f64 v[94:95], v[130:131], s[20:21]
	v_add_f64 v[46:47], v[46:47], v[120:121]
	v_add_f64 v[34:35], v[96:97], v[34:35]
	v_mul_f64 v[96:97], v[147:148], s[30:31]
	v_add_f64 v[38:39], v[40:41], v[38:39]
	v_fma_f64 v[52:53], v[132:133], s[16:17], v[94:95]
	v_fma_f64 v[98:99], v[149:150], s[4:5], -v[96:97]
	v_fma_f64 v[40:41], v[149:150], s[4:5], v[96:97]
	v_fma_f64 v[96:97], v[132:133], s[16:17], -v[94:95]
	v_add_f64 v[44:45], v[52:53], v[44:45]
	v_add_f64 v[32:33], v[98:99], v[32:33]
	v_mul_f64 v[98:99], v[151:152], s[30:31]
	v_add_f64 v[36:37], v[40:41], v[36:37]
	v_fma_f64 v[106:107], v[153:154], s[4:5], v[98:99]
	v_fma_f64 v[40:41], v[153:154], s[4:5], -v[98:99]
	v_add_f64 v[34:35], v[106:107], v[34:35]
	v_mul_f64 v[106:107], v[155:156], s[18:19]
	v_add_f64 v[38:39], v[40:41], v[38:39]
	v_fma_f64 v[163:164], v[157:158], s[14:15], -v[106:107]
	v_fma_f64 v[40:41], v[157:158], s[14:15], v[106:107]
	v_add_f64 v[32:33], v[163:164], v[32:33]
	v_mul_f64 v[163:164], v[159:160], s[18:19]
	v_add_f64 v[36:37], v[40:41], v[36:37]
	v_fma_f64 v[40:41], v[124:125], s[4:5], -v[90:91]
	v_fma_f64 v[42:43], v[161:162], s[14:15], -v[163:164]
	v_fma_f64 v[165:166], v[161:162], s[14:15], v[163:164]
	v_add_f64 v[40:41], v[40:41], v[110:111]
	v_add_f64 v[38:39], v[42:43], v[38:39]
	v_fma_f64 v[42:43], v[128:129], s[4:5], v[92:93]
	v_add_f64 v[40:41], v[96:97], v[40:41]
	v_mul_f64 v[96:97], v[134:135], s[20:21]
	v_add_f64 v[34:35], v[165:166], v[34:35]
	v_add_f64 v[42:43], v[42:43], v[102:103]
	v_fma_f64 v[98:99], v[136:137], s[16:17], v[96:97]
	v_fma_f64 v[54:55], v[136:137], s[16:17], -v[96:97]
	v_add_f64 v[42:43], v[98:99], v[42:43]
	v_mul_f64 v[98:99], v[138:139], s[36:37]
	v_add_f64 v[46:47], v[54:55], v[46:47]
	v_fma_f64 v[102:103], v[140:141], s[6:7], -v[98:99]
	v_fma_f64 v[56:57], v[140:141], s[6:7], v[98:99]
	v_add_f64 v[40:41], v[102:103], v[40:41]
	v_mul_f64 v[102:103], v[143:144], s[36:37]
	v_add_f64 v[44:45], v[56:57], v[44:45]
	v_subrev_nc_u32_e32 v143, 26, v114
	v_fma_f64 v[106:107], v[145:146], s[6:7], v[102:103]
	v_fma_f64 v[58:59], v[145:146], s[6:7], -v[102:103]
	v_add_f64 v[42:43], v[106:107], v[42:43]
	v_mul_f64 v[106:107], v[147:148], s[18:19]
	v_add_f64 v[46:47], v[58:59], v[46:47]
	v_fma_f64 v[58:59], v[161:162], s[8:9], -v[122:123]
	v_fma_f64 v[108:109], v[149:150], s[14:15], -v[106:107]
	v_fma_f64 v[52:53], v[149:150], s[14:15], v[106:107]
	v_add_f64 v[40:41], v[108:109], v[40:41]
	v_mul_f64 v[108:109], v[151:152], s[18:19]
	v_add_f64 v[44:45], v[52:53], v[44:45]
	v_lshrrev_b32_e32 v52, 1, v100
	v_mul_u32_u24_e32 v52, 26, v52
	v_or_b32_e32 v52, v52, v101
	v_cndmask_b32_e64 v101, v143, v114, s0
	v_lshl_add_u32 v52, v52, 4, 0
	v_fma_f64 v[110:111], v[153:154], s[14:15], v[108:109]
	v_fma_f64 v[54:55], v[153:154], s[14:15], -v[108:109]
	ds_write_b128 v52, v[48:51]
	v_mov_b32_e32 v49, 0
	v_mul_i32_i24_e32 v48, 12, v101
	v_lshlrev_b64 v[48:49], 4, v[48:49]
	v_add_co_u32 v48, s1, s12, v48
	v_add_co_ci_u32_e64 v49, s1, s13, v49, s1
	v_cmp_lt_u32_e64 s1, 25, v114
	v_add_f64 v[42:43], v[110:111], v[42:43]
	v_mul_f64 v[110:111], v[155:156], s[28:29]
	v_add_f64 v[46:47], v[54:55], v[46:47]
	v_fma_f64 v[126:127], v[157:158], s[8:9], -v[110:111]
	v_fma_f64 v[56:57], v[157:158], s[8:9], v[110:111]
	v_add_f64 v[46:47], v[58:59], v[46:47]
	v_add_f64 v[40:41], v[126:127], v[40:41]
	v_fma_f64 v[126:127], v[161:162], s[8:9], v[122:123]
	v_add_f64 v[44:45], v[56:57], v[44:45]
	v_add_f64 v[42:43], v[126:127], v[42:43]
	ds_write_b128 v52, v[0:3] offset:32
	ds_write_b128 v52, v[8:11] offset:64
	;; [unrolled: 1-line block ×12, first 2 shown]
	s_waitcnt lgkmcnt(0)
	s_barrier
	buffer_gl0_inv
	s_clause 0x5
	global_load_dwordx4 v[0:3], v[48:49], off offset:384
	global_load_dwordx4 v[4:7], v[48:49], off offset:400
	;; [unrolled: 1-line block ×6, first 2 shown]
	ds_read_b128 v[8:11], v142 offset:1664
	ds_read_b128 v[40:43], v142 offset:2496
	;; [unrolled: 1-line block ×4, first 2 shown]
	s_waitcnt vmcnt(5) lgkmcnt(3)
	v_mul_f64 v[12:13], v[10:11], v[2:3]
	v_mul_f64 v[2:3], v[8:9], v[2:3]
	s_waitcnt vmcnt(4) lgkmcnt(1)
	v_mul_f64 v[34:35], v[32:33], v[6:7]
	v_mul_f64 v[6:7], v[30:31], v[6:7]
	v_fma_f64 v[96:97], v[8:9], v[0:1], -v[12:13]
	v_fma_f64 v[98:99], v[10:11], v[0:1], v[2:3]
	ds_read_b128 v[0:3], v142 offset:4992
	ds_read_b128 v[50:53], v142 offset:5824
	v_fma_f64 v[8:9], v[30:31], v[4:5], -v[34:35]
	v_fma_f64 v[10:11], v[32:33], v[4:5], v[6:7]
	ds_read_b128 v[4:7], v142 offset:6656
	s_waitcnt vmcnt(3) lgkmcnt(2)
	v_mul_f64 v[12:13], v[2:3], v[16:17]
	v_mul_f64 v[16:17], v[0:1], v[16:17]
	v_fma_f64 v[12:13], v[0:1], v[14:15], -v[12:13]
	v_fma_f64 v[14:15], v[2:3], v[14:15], v[16:17]
	ds_read_b128 v[0:3], v142 offset:7488
	s_waitcnt vmcnt(2) lgkmcnt(1)
	v_mul_f64 v[16:17], v[6:7], v[20:21]
	v_mul_f64 v[20:21], v[4:5], v[20:21]
	v_fma_f64 v[16:17], v[4:5], v[18:19], -v[16:17]
	v_fma_f64 v[18:19], v[6:7], v[18:19], v[20:21]
	ds_read_b128 v[4:7], v142 offset:8320
	ds_read_b128 v[54:57], v142 offset:9152
	s_waitcnt vmcnt(1) lgkmcnt(1)
	v_mul_f64 v[20:21], v[6:7], v[24:25]
	v_fma_f64 v[20:21], v[4:5], v[22:23], -v[20:21]
	v_mul_f64 v[4:5], v[4:5], v[24:25]
	v_fma_f64 v[22:23], v[6:7], v[22:23], v[4:5]
	ds_read_b128 v[4:7], v142 offset:9984
	ds_read_b128 v[68:71], v142 offset:10816
	s_waitcnt vmcnt(0) lgkmcnt(1)
	v_mul_f64 v[24:25], v[6:7], v[28:29]
	v_fma_f64 v[24:25], v[4:5], v[26:27], -v[24:25]
	v_mul_f64 v[4:5], v[4:5], v[28:29]
	v_fma_f64 v[26:27], v[6:7], v[26:27], v[4:5]
	s_clause 0x1
	global_load_dwordx4 v[4:7], v[48:49], off offset:480
	global_load_dwordx4 v[34:37], v[48:49], off offset:496
	ds_read_b128 v[30:33], v142 offset:11648
	ds_read_b128 v[102:105], v142 offset:12480
	s_waitcnt vmcnt(1) lgkmcnt(1)
	v_mul_f64 v[28:29], v[32:33], v[6:7]
	v_mul_f64 v[6:7], v[30:31], v[6:7]
	v_fma_f64 v[28:29], v[30:31], v[4:5], -v[28:29]
	v_fma_f64 v[30:31], v[32:33], v[4:5], v[6:7]
	ds_read_b128 v[4:7], v142 offset:13312
	ds_read_b128 v[106:109], v142 offset:14144
	s_waitcnt vmcnt(0) lgkmcnt(1)
	v_mul_f64 v[32:33], v[6:7], v[36:37]
	v_add_f64 v[210:211], v[24:25], v[28:29]
	v_add_f64 v[216:217], v[26:27], v[30:31]
	v_fma_f64 v[32:33], v[4:5], v[34:35], -v[32:33]
	v_mul_f64 v[4:5], v[4:5], v[36:37]
	v_add_f64 v[202:203], v[20:21], v[32:33]
	v_fma_f64 v[34:35], v[6:7], v[34:35], v[4:5]
	s_clause 0x1
	global_load_dwordx4 v[4:7], v[48:49], off offset:512
	global_load_dwordx4 v[58:61], v[48:49], off offset:528
	ds_read_b128 v[62:65], v142 offset:14976
	ds_read_b128 v[118:121], v142 offset:15808
	v_add_f64 v[204:205], v[20:21], -v[32:33]
	v_add_f64 v[200:201], v[22:23], -v[34:35]
	v_add_f64 v[206:207], v[22:23], v[34:35]
	s_waitcnt vmcnt(1) lgkmcnt(1)
	v_mul_f64 v[36:37], v[64:65], v[6:7]
	v_mul_f64 v[6:7], v[62:63], v[6:7]
	v_fma_f64 v[36:37], v[62:63], v[4:5], -v[36:37]
	v_fma_f64 v[38:39], v[64:65], v[4:5], v[6:7]
	ds_read_b128 v[4:7], v142 offset:16640
	ds_read_b128 v[122:125], v142 offset:17472
	s_waitcnt vmcnt(0) lgkmcnt(1)
	v_mul_f64 v[62:63], v[6:7], v[60:61]
	v_add_f64 v[194:195], v[16:17], v[36:37]
	v_add_f64 v[192:193], v[18:19], -v[38:39]
	v_add_f64 v[196:197], v[16:17], -v[36:37]
	v_add_f64 v[198:199], v[18:19], v[38:39]
	v_fma_f64 v[84:85], v[4:5], v[58:59], -v[62:63]
	v_mul_f64 v[4:5], v[4:5], v[60:61]
	v_add_f64 v[186:187], v[12:13], v[84:85]
	v_fma_f64 v[86:87], v[6:7], v[58:59], v[4:5]
	s_clause 0x1
	global_load_dwordx4 v[4:7], v[48:49], off offset:544
	global_load_dwordx4 v[58:61], v[48:49], off offset:560
	ds_read_b128 v[62:65], v142 offset:18304
	ds_read_b128 v[126:129], v142 offset:19136
	v_add_f64 v[188:189], v[12:13], -v[84:85]
	v_add_f64 v[184:185], v[14:15], -v[86:87]
	v_add_f64 v[190:191], v[14:15], v[86:87]
	s_waitcnt vmcnt(1) lgkmcnt(1)
	v_mul_f64 v[48:49], v[64:65], v[6:7]
	v_mul_f64 v[6:7], v[62:63], v[6:7]
	v_fma_f64 v[88:89], v[62:63], v[4:5], -v[48:49]
	v_fma_f64 v[90:91], v[64:65], v[4:5], v[6:7]
	ds_read_b128 v[4:7], v142 offset:19968
	ds_read_b128 v[130:133], v142 offset:20800
	s_waitcnt vmcnt(0) lgkmcnt(1)
	v_mul_f64 v[48:49], v[6:7], v[60:61]
	v_add_f64 v[178:179], v[8:9], v[88:89]
	v_add_f64 v[176:177], v[10:11], -v[90:91]
	v_add_f64 v[180:181], v[8:9], -v[88:89]
	v_add_f64 v[182:183], v[10:11], v[90:91]
	v_fma_f64 v[92:93], v[4:5], v[58:59], -v[48:49]
	v_mul_f64 v[4:5], v[4:5], v[60:61]
	v_add_f64 v[110:111], v[96:97], v[92:93]
	v_fma_f64 v[94:95], v[6:7], v[58:59], v[4:5]
	v_and_b32_e32 v4, 0xff, v100
	v_mul_lo_u16 v4, 0x4f, v4
	v_lshrrev_b16 v144, 11, v4
	v_mul_lo_u16 v4, v144, 26
	v_sub_nc_u16 v145, v100, v4
	v_mov_b32_e32 v4, 12
	v_add_f64 v[140:141], v[98:99], v[94:95]
	v_mul_u32_u24_sdwa v4, v145, v4 dst_sel:DWORD dst_unused:UNUSED_PAD src0_sel:BYTE_0 src1_sel:DWORD
	v_lshlrev_b32_e32 v72, 4, v4
	s_clause 0x1
	global_load_dwordx4 v[58:61], v72, s[12:13] offset:384
	global_load_dwordx4 v[62:65], v72, s[12:13] offset:400
	s_waitcnt vmcnt(1)
	v_mul_f64 v[4:5], v[42:43], v[60:61]
	v_mul_f64 v[6:7], v[40:41], v[60:61]
	v_fma_f64 v[4:5], v[40:41], v[58:59], -v[4:5]
	s_waitcnt vmcnt(0)
	v_mul_f64 v[40:41], v[46:47], v[64:65]
	v_fma_f64 v[6:7], v[42:43], v[58:59], v[6:7]
	v_fma_f64 v[80:81], v[44:45], v[62:63], -v[40:41]
	v_mul_f64 v[40:41], v[44:45], v[64:65]
	v_fma_f64 v[82:83], v[46:47], v[62:63], v[40:41]
	s_clause 0x1
	global_load_dwordx4 v[40:43], v72, s[12:13] offset:416
	global_load_dwordx4 v[44:47], v72, s[12:13] offset:432
	s_waitcnt vmcnt(1)
	v_mul_f64 v[48:49], v[52:53], v[42:43]
	v_mul_f64 v[42:43], v[50:51], v[42:43]
	v_fma_f64 v[74:75], v[50:51], v[40:41], -v[48:49]
	v_fma_f64 v[76:77], v[52:53], v[40:41], v[42:43]
	s_waitcnt vmcnt(0)
	v_mul_f64 v[40:41], v[2:3], v[46:47]
	v_fma_f64 v[64:65], v[0:1], v[44:45], -v[40:41]
	v_mul_f64 v[0:1], v[0:1], v[46:47]
	v_fma_f64 v[66:67], v[2:3], v[44:45], v[0:1]
	s_clause 0x1
	global_load_dwordx4 v[0:3], v72, s[12:13] offset:448
	global_load_dwordx4 v[40:43], v72, s[12:13] offset:464
	s_waitcnt vmcnt(1)
	v_mul_f64 v[44:45], v[56:57], v[2:3]
	v_mul_f64 v[2:3], v[54:55], v[2:3]
	v_fma_f64 v[60:61], v[54:55], v[0:1], -v[44:45]
	v_fma_f64 v[62:63], v[56:57], v[0:1], v[2:3]
	s_waitcnt vmcnt(0)
	v_mul_f64 v[0:1], v[70:71], v[42:43]
	v_fma_f64 v[56:57], v[68:69], v[40:41], -v[0:1]
	v_mul_f64 v[0:1], v[68:69], v[42:43]
	v_fma_f64 v[58:59], v[70:71], v[40:41], v[0:1]
	s_clause 0x1
	global_load_dwordx4 v[0:3], v72, s[12:13] offset:480
	global_load_dwordx4 v[40:43], v72, s[12:13] offset:496
	s_waitcnt vmcnt(1)
	v_mul_f64 v[44:45], v[104:105], v[2:3]
	v_mul_f64 v[2:3], v[102:103], v[2:3]
	v_fma_f64 v[52:53], v[102:103], v[0:1], -v[44:45]
	v_fma_f64 v[54:55], v[104:105], v[0:1], v[2:3]
	s_waitcnt vmcnt(0)
	v_mul_f64 v[0:1], v[108:109], v[42:43]
	v_fma_f64 v[48:49], v[106:107], v[40:41], -v[0:1]
	v_mul_f64 v[0:1], v[106:107], v[42:43]
	v_fma_f64 v[50:51], v[108:109], v[40:41], v[0:1]
	s_clause 0x1
	global_load_dwordx4 v[0:3], v72, s[12:13] offset:512
	global_load_dwordx4 v[68:71], v72, s[12:13] offset:528
	s_waitcnt vmcnt(1)
	v_mul_f64 v[40:41], v[120:121], v[2:3]
	v_mul_f64 v[2:3], v[118:119], v[2:3]
	v_fma_f64 v[44:45], v[118:119], v[0:1], -v[40:41]
	v_fma_f64 v[46:47], v[120:121], v[0:1], v[2:3]
	s_waitcnt vmcnt(0)
	v_mul_f64 v[0:1], v[124:125], v[70:71]
	v_fma_f64 v[40:41], v[122:123], v[68:69], -v[0:1]
	v_mul_f64 v[0:1], v[122:123], v[70:71]
	v_fma_f64 v[42:43], v[124:125], v[68:69], v[0:1]
	s_clause 0x1
	global_load_dwordx4 v[0:3], v72, s[12:13] offset:544
	global_load_dwordx4 v[102:105], v72, s[12:13] offset:560
	s_waitcnt vmcnt(1)
	v_mul_f64 v[68:69], v[128:129], v[2:3]
	v_mul_f64 v[2:3], v[126:127], v[2:3]
	v_fma_f64 v[68:69], v[126:127], v[0:1], -v[68:69]
	v_fma_f64 v[70:71], v[128:129], v[0:1], v[2:3]
	s_waitcnt vmcnt(0) lgkmcnt(0)
	v_mul_f64 v[0:1], v[132:133], v[104:105]
	v_fma_f64 v[72:73], v[130:131], v[102:103], -v[0:1]
	v_mul_f64 v[0:1], v[130:131], v[104:105]
	v_fma_f64 v[78:79], v[132:133], v[102:103], v[0:1]
	v_add_f64 v[0:1], v[98:99], -v[94:95]
	v_mul_f64 v[2:3], v[0:1], s[44:45]
	v_mul_f64 v[102:103], v[0:1], s[22:23]
	;; [unrolled: 1-line block ×6, first 2 shown]
	v_fma_f64 v[118:119], v[110:111], s[4:5], -v[2:3]
	v_fma_f64 v[120:121], v[110:111], s[4:5], v[2:3]
	v_fma_f64 v[122:123], v[110:111], s[6:7], -v[102:103]
	v_fma_f64 v[124:125], v[110:111], s[6:7], v[102:103]
	;; [unrolled: 2-line block ×6, first 2 shown]
	v_add_f64 v[0:1], v[96:97], -v[92:93]
	v_mul_f64 v[2:3], v[0:1], s[44:45]
	v_mul_f64 v[102:103], v[0:1], s[22:23]
	;; [unrolled: 1-line block ×6, first 2 shown]
	v_fma_f64 v[146:147], v[140:141], s[4:5], v[2:3]
	v_fma_f64 v[148:149], v[140:141], s[4:5], -v[2:3]
	v_fma_f64 v[150:151], v[140:141], s[6:7], v[102:103]
	v_fma_f64 v[152:153], v[140:141], s[6:7], -v[102:103]
	;; [unrolled: 2-line block ×6, first 2 shown]
	ds_read_b128 v[102:105], v142
	ds_read_b128 v[0:3], v142 offset:832
	s_waitcnt lgkmcnt(0)
	s_barrier
	buffer_gl0_inv
	v_add_f64 v[164:165], v[102:103], v[96:97]
	v_add_f64 v[166:167], v[104:105], v[98:99]
	;; [unrolled: 1-line block ×21, first 2 shown]
	v_mul_f64 v[102:103], v[176:177], s[22:23]
	v_add_f64 v[136:137], v[104:105], v[136:137]
	v_add_f64 v[160:161], v[104:105], v[160:161]
	;; [unrolled: 1-line block ×7, first 2 shown]
	v_fma_f64 v[104:105], v[178:179], s[6:7], -v[102:103]
	v_fma_f64 v[102:103], v[178:179], s[6:7], v[102:103]
	v_add_f64 v[8:9], v[8:9], v[12:13]
	v_add_f64 v[10:11], v[10:11], v[14:15]
	v_lshlrev_b32_e32 v12, 4, v101
	v_cndmask_b32_e64 v13, 0, 0x1520, s1
	v_add3_u32 v12, 0, v13, v12
	v_add_f64 v[96:97], v[104:105], v[96:97]
	v_mul_f64 v[104:105], v[180:181], s[22:23]
	v_add_f64 v[102:103], v[102:103], v[118:119]
	v_mul_f64 v[118:119], v[176:177], s[18:19]
	v_add_f64 v[8:9], v[8:9], v[16:17]
	v_add_f64 v[10:11], v[10:11], v[18:19]
	v_fma_f64 v[106:107], v[182:183], s[6:7], v[104:105]
	v_fma_f64 v[104:105], v[182:183], s[6:7], -v[104:105]
	v_add_f64 v[8:9], v[8:9], v[20:21]
	v_add_f64 v[10:11], v[10:11], v[22:23]
	;; [unrolled: 1-line block ×4, first 2 shown]
	v_mul_f64 v[106:107], v[184:185], s[26:27]
	v_add_f64 v[104:105], v[104:105], v[120:121]
	v_mul_f64 v[120:121], v[180:181], s[18:19]
	v_add_f64 v[8:9], v[8:9], v[24:25]
	v_add_f64 v[10:11], v[10:11], v[26:27]
	v_fma_f64 v[108:109], v[186:187], s[8:9], -v[106:107]
	v_fma_f64 v[106:107], v[186:187], s[8:9], v[106:107]
	v_add_f64 v[8:9], v[8:9], v[28:29]
	v_add_f64 v[10:11], v[10:11], v[30:31]
	;; [unrolled: 1-line block ×3, first 2 shown]
	v_mul_f64 v[108:109], v[188:189], s[26:27]
	v_add_f64 v[102:103], v[106:107], v[102:103]
	v_add_f64 v[8:9], v[8:9], v[32:33]
	;; [unrolled: 1-line block ×3, first 2 shown]
	v_fma_f64 v[132:133], v[190:191], s[8:9], v[108:109]
	v_fma_f64 v[106:107], v[190:191], s[8:9], -v[108:109]
	v_add_f64 v[8:9], v[8:9], v[36:37]
	v_add_f64 v[10:11], v[10:11], v[38:39]
	;; [unrolled: 1-line block ×3, first 2 shown]
	v_mul_f64 v[132:133], v[192:193], s[18:19]
	v_add_f64 v[104:105], v[106:107], v[104:105]
	v_add_f64 v[8:9], v[8:9], v[84:85]
	;; [unrolled: 1-line block ×4, first 2 shown]
	v_fma_f64 v[134:135], v[194:195], s[14:15], -v[132:133]
	v_fma_f64 v[106:107], v[194:195], s[14:15], v[132:133]
	v_add_f64 v[8:9], v[8:9], v[88:89]
	v_add_f64 v[10:11], v[10:11], v[90:91]
	;; [unrolled: 1-line block ×3, first 2 shown]
	v_mul_f64 v[134:135], v[196:197], s[18:19]
	v_add_f64 v[102:103], v[106:107], v[102:103]
	v_add_f64 v[8:9], v[8:9], v[92:93]
	v_add_f64 v[10:11], v[10:11], v[94:95]
	v_fma_f64 v[138:139], v[198:199], s[14:15], v[134:135]
	v_fma_f64 v[106:107], v[198:199], s[14:15], -v[134:135]
	v_add_f64 v[98:99], v[138:139], v[98:99]
	v_mul_f64 v[138:139], v[200:201], s[20:21]
	v_add_f64 v[104:105], v[106:107], v[104:105]
	v_fma_f64 v[140:141], v[202:203], s[16:17], -v[138:139]
	v_fma_f64 v[106:107], v[202:203], s[16:17], v[138:139]
	v_add_f64 v[96:97], v[140:141], v[96:97]
	v_mul_f64 v[140:141], v[204:205], s[20:21]
	v_add_f64 v[102:103], v[106:107], v[102:103]
	v_fma_f64 v[208:209], v[206:207], s[16:17], v[140:141]
	v_fma_f64 v[106:107], v[206:207], s[16:17], -v[140:141]
	v_add_f64 v[98:99], v[208:209], v[98:99]
	v_add_f64 v[208:209], v[26:27], -v[30:31]
	v_add_f64 v[104:105], v[106:107], v[104:105]
	v_mul_f64 v[212:213], v[208:209], s[34:35]
	v_fma_f64 v[214:215], v[210:211], s[24:25], -v[212:213]
	v_fma_f64 v[106:107], v[210:211], s[24:25], v[212:213]
	v_add_f64 v[96:97], v[214:215], v[96:97]
	v_add_f64 v[214:215], v[24:25], -v[28:29]
	v_add_f64 v[102:103], v[106:107], v[102:103]
	v_fma_f64 v[106:107], v[178:179], s[14:15], -v[118:119]
	v_fma_f64 v[118:119], v[178:179], s[14:15], v[118:119]
	v_mul_f64 v[218:219], v[214:215], s[34:35]
	v_add_f64 v[106:107], v[106:107], v[122:123]
	v_mul_f64 v[122:123], v[184:185], s[34:35]
	v_add_f64 v[118:119], v[118:119], v[124:125]
	v_fma_f64 v[108:109], v[216:217], s[24:25], -v[218:219]
	v_fma_f64 v[220:221], v[216:217], s[24:25], v[218:219]
	v_fma_f64 v[132:133], v[186:187], s[24:25], -v[122:123]
	v_fma_f64 v[122:123], v[186:187], s[24:25], v[122:123]
	v_add_f64 v[104:105], v[108:109], v[104:105]
	v_fma_f64 v[108:109], v[182:183], s[14:15], v[120:121]
	v_fma_f64 v[120:121], v[182:183], s[14:15], -v[120:121]
	v_add_f64 v[106:107], v[132:133], v[106:107]
	v_mul_f64 v[132:133], v[188:189], s[34:35]
	v_add_f64 v[118:119], v[122:123], v[118:119]
	v_add_f64 v[98:99], v[220:221], v[98:99]
	;; [unrolled: 1-line block ×4, first 2 shown]
	v_fma_f64 v[134:135], v[190:191], s[24:25], v[132:133]
	v_fma_f64 v[122:123], v[190:191], s[24:25], -v[132:133]
	v_mul_f64 v[132:133], v[176:177], s[34:35]
	v_add_f64 v[108:109], v[134:135], v[108:109]
	v_mul_f64 v[134:135], v[192:193], s[38:39]
	v_add_f64 v[120:121], v[122:123], v[120:121]
	v_fma_f64 v[138:139], v[194:195], s[16:17], -v[134:135]
	v_fma_f64 v[122:123], v[194:195], s[16:17], v[134:135]
	v_mul_f64 v[134:135], v[184:185], s[42:43]
	v_add_f64 v[106:107], v[138:139], v[106:107]
	v_mul_f64 v[138:139], v[196:197], s[38:39]
	v_add_f64 v[118:119], v[122:123], v[118:119]
	v_fma_f64 v[140:141], v[198:199], s[16:17], v[138:139]
	v_fma_f64 v[122:123], v[198:199], s[16:17], -v[138:139]
	v_fma_f64 v[138:139], v[186:187], s[14:15], -v[134:135]
	v_add_f64 v[108:109], v[140:141], v[108:109]
	v_mul_f64 v[140:141], v[200:201], s[28:29]
	v_add_f64 v[120:121], v[122:123], v[120:121]
	v_fma_f64 v[146:147], v[202:203], s[8:9], -v[140:141]
	v_fma_f64 v[122:123], v[202:203], s[8:9], v[140:141]
	v_add_f64 v[106:107], v[146:147], v[106:107]
	v_mul_f64 v[146:147], v[204:205], s[28:29]
	v_add_f64 v[118:119], v[122:123], v[118:119]
	v_fma_f64 v[212:213], v[206:207], s[8:9], v[146:147]
	v_fma_f64 v[122:123], v[206:207], s[8:9], -v[146:147]
	v_add_f64 v[108:109], v[212:213], v[108:109]
	v_mul_f64 v[212:213], v[208:209], s[30:31]
	v_add_f64 v[120:121], v[122:123], v[120:121]
	v_fma_f64 v[218:219], v[210:211], s[4:5], -v[212:213]
	v_fma_f64 v[122:123], v[210:211], s[4:5], v[212:213]
	v_add_f64 v[106:107], v[218:219], v[106:107]
	v_mul_f64 v[218:219], v[214:215], s[30:31]
	v_add_f64 v[118:119], v[122:123], v[118:119]
	v_fma_f64 v[122:123], v[178:179], s[24:25], -v[132:133]
	v_fma_f64 v[132:133], v[178:179], s[24:25], v[132:133]
	v_fma_f64 v[124:125], v[216:217], s[4:5], -v[218:219]
	v_fma_f64 v[220:221], v[216:217], s[4:5], v[218:219]
	v_add_f64 v[122:123], v[122:123], v[126:127]
	v_mul_f64 v[126:127], v[180:181], s[34:35]
	v_add_f64 v[128:129], v[132:133], v[128:129]
	v_fma_f64 v[132:133], v[186:187], s[14:15], v[134:135]
	v_add_f64 v[120:121], v[124:125], v[120:121]
	v_add_f64 v[108:109], v[220:221], v[108:109]
	;; [unrolled: 1-line block ×3, first 2 shown]
	v_fma_f64 v[124:125], v[182:183], s[24:25], v[126:127]
	v_mul_f64 v[138:139], v[188:189], s[42:43]
	v_fma_f64 v[126:127], v[182:183], s[24:25], -v[126:127]
	v_add_f64 v[128:129], v[132:133], v[128:129]
	v_add_f64 v[124:125], v[124:125], v[150:151]
	v_fma_f64 v[140:141], v[190:191], s[14:15], v[138:139]
	v_add_f64 v[126:127], v[126:127], v[152:153]
	v_fma_f64 v[132:133], v[190:191], s[14:15], -v[138:139]
	v_mul_f64 v[138:139], v[180:181], s[38:39]
	v_add_f64 v[124:125], v[140:141], v[124:125]
	v_mul_f64 v[140:141], v[192:193], s[30:31]
	v_add_f64 v[126:127], v[132:133], v[126:127]
	v_fma_f64 v[146:147], v[194:195], s[4:5], -v[140:141]
	v_fma_f64 v[132:133], v[194:195], s[4:5], v[140:141]
	v_mul_f64 v[140:141], v[184:185], s[30:31]
	v_add_f64 v[122:123], v[146:147], v[122:123]
	v_mul_f64 v[146:147], v[196:197], s[30:31]
	v_add_f64 v[128:129], v[132:133], v[128:129]
	v_fma_f64 v[148:149], v[198:199], s[4:5], v[146:147]
	v_fma_f64 v[132:133], v[198:199], s[4:5], -v[146:147]
	v_fma_f64 v[146:147], v[186:187], s[4:5], -v[140:141]
	v_add_f64 v[124:125], v[148:149], v[124:125]
	v_mul_f64 v[148:149], v[200:201], s[22:23]
	v_add_f64 v[126:127], v[132:133], v[126:127]
	v_fma_f64 v[150:151], v[202:203], s[6:7], -v[148:149]
	v_fma_f64 v[132:133], v[202:203], s[6:7], v[148:149]
	v_add_f64 v[122:123], v[150:151], v[122:123]
	v_mul_f64 v[150:151], v[204:205], s[22:23]
	v_add_f64 v[128:129], v[132:133], v[128:129]
	v_fma_f64 v[212:213], v[206:207], s[6:7], v[150:151]
	v_fma_f64 v[132:133], v[206:207], s[6:7], -v[150:151]
	v_add_f64 v[124:125], v[212:213], v[124:125]
	v_mul_f64 v[212:213], v[208:209], s[20:21]
	v_add_f64 v[132:133], v[132:133], v[126:127]
	v_fma_f64 v[218:219], v[210:211], s[16:17], -v[212:213]
	v_fma_f64 v[126:127], v[210:211], s[16:17], v[212:213]
	v_add_f64 v[122:123], v[218:219], v[122:123]
	v_mul_f64 v[218:219], v[214:215], s[20:21]
	v_add_f64 v[126:127], v[126:127], v[128:129]
	v_fma_f64 v[134:135], v[216:217], s[16:17], -v[218:219]
	v_fma_f64 v[220:221], v[216:217], s[16:17], v[218:219]
	;; [unrolled: 5-line block ×3, first 2 shown]
	v_add_f64 v[130:131], v[132:133], v[130:131]
	v_fma_f64 v[132:133], v[182:183], s[16:17], v[138:139]
	v_fma_f64 v[138:139], v[182:183], s[16:17], -v[138:139]
	v_add_f64 v[134:135], v[134:135], v[156:157]
	v_add_f64 v[130:131], v[146:147], v[130:131]
	v_mul_f64 v[146:147], v[188:189], s[30:31]
	v_add_f64 v[132:133], v[132:133], v[154:155]
	v_add_f64 v[136:137], v[138:139], v[136:137]
	v_fma_f64 v[138:139], v[186:187], s[4:5], v[140:141]
	v_fma_f64 v[148:149], v[190:191], s[4:5], v[146:147]
	v_add_f64 v[134:135], v[138:139], v[134:135]
	v_fma_f64 v[138:139], v[190:191], s[4:5], -v[146:147]
	v_mul_f64 v[146:147], v[176:177], s[28:29]
	v_add_f64 v[132:133], v[148:149], v[132:133]
	v_mul_f64 v[148:149], v[192:193], s[26:27]
	v_add_f64 v[136:137], v[138:139], v[136:137]
	v_fma_f64 v[150:151], v[194:195], s[8:9], -v[148:149]
	v_fma_f64 v[138:139], v[194:195], s[8:9], v[148:149]
	v_mul_f64 v[148:149], v[180:181], s[28:29]
	v_add_f64 v[130:131], v[150:151], v[130:131]
	v_mul_f64 v[150:151], v[196:197], s[26:27]
	v_add_f64 v[134:135], v[138:139], v[134:135]
	v_fma_f64 v[152:153], v[198:199], s[8:9], v[150:151]
	v_fma_f64 v[138:139], v[198:199], s[8:9], -v[150:151]
	v_mul_f64 v[150:151], v[184:185], s[22:23]
	v_add_f64 v[132:133], v[152:153], v[132:133]
	v_mul_f64 v[152:153], v[200:201], s[40:41]
	v_add_f64 v[136:137], v[138:139], v[136:137]
	v_fma_f64 v[154:155], v[202:203], s[24:25], -v[152:153]
	v_fma_f64 v[138:139], v[202:203], s[24:25], v[152:153]
	v_fma_f64 v[152:153], v[186:187], s[6:7], -v[150:151]
	v_fma_f64 v[150:151], v[186:187], s[6:7], v[150:151]
	v_add_f64 v[130:131], v[154:155], v[130:131]
	v_mul_f64 v[154:155], v[204:205], s[40:41]
	v_add_f64 v[134:135], v[138:139], v[134:135]
	v_fma_f64 v[212:213], v[206:207], s[24:25], v[154:155]
	v_fma_f64 v[138:139], v[206:207], s[24:25], -v[154:155]
	v_add_f64 v[132:133], v[212:213], v[132:133]
	v_mul_f64 v[212:213], v[208:209], s[36:37]
	v_add_f64 v[136:137], v[138:139], v[136:137]
	v_fma_f64 v[218:219], v[210:211], s[6:7], -v[212:213]
	v_fma_f64 v[138:139], v[210:211], s[6:7], v[212:213]
	v_add_f64 v[130:131], v[218:219], v[130:131]
	v_mul_f64 v[218:219], v[214:215], s[36:37]
	v_add_f64 v[134:135], v[138:139], v[134:135]
	v_fma_f64 v[138:139], v[178:179], s[8:9], -v[146:147]
	v_fma_f64 v[146:147], v[178:179], s[8:9], v[146:147]
	v_fma_f64 v[140:141], v[216:217], s[6:7], -v[218:219]
	v_fma_f64 v[220:221], v[216:217], s[6:7], v[218:219]
	v_add_f64 v[138:139], v[138:139], v[158:159]
	v_add_f64 v[146:147], v[146:147], v[168:169]
	v_add_f64 v[136:137], v[140:141], v[136:137]
	v_fma_f64 v[140:141], v[182:183], s[8:9], v[148:149]
	v_add_f64 v[138:139], v[152:153], v[138:139]
	v_mul_f64 v[152:153], v[188:189], s[22:23]
	v_fma_f64 v[148:149], v[182:183], s[8:9], -v[148:149]
	v_add_f64 v[146:147], v[150:151], v[146:147]
	v_add_f64 v[132:133], v[220:221], v[132:133]
	v_add_f64 v[140:141], v[140:141], v[160:161]
	v_fma_f64 v[154:155], v[190:191], s[6:7], v[152:153]
	v_add_f64 v[148:149], v[148:149], v[170:171]
	v_fma_f64 v[150:151], v[190:191], s[6:7], -v[152:153]
	v_add_f64 v[140:141], v[154:155], v[140:141]
	v_mul_f64 v[154:155], v[192:193], s[40:41]
	v_add_f64 v[148:149], v[150:151], v[148:149]
	v_fma_f64 v[156:157], v[194:195], s[24:25], -v[154:155]
	v_fma_f64 v[150:151], v[194:195], s[24:25], v[154:155]
	v_mul_f64 v[154:155], v[176:177], s[30:31]
	v_add_f64 v[138:139], v[156:157], v[138:139]
	v_mul_f64 v[156:157], v[196:197], s[40:41]
	v_add_f64 v[146:147], v[150:151], v[146:147]
	v_fma_f64 v[158:159], v[198:199], s[24:25], v[156:157]
	v_fma_f64 v[150:151], v[198:199], s[24:25], -v[156:157]
	v_mul_f64 v[156:157], v[180:181], s[30:31]
	v_mul_f64 v[180:181], v[214:215], s[28:29]
	v_add_f64 v[140:141], v[158:159], v[140:141]
	v_mul_f64 v[158:159], v[200:201], s[30:31]
	v_add_f64 v[148:149], v[150:151], v[148:149]
	v_fma_f64 v[160:161], v[202:203], s[4:5], -v[158:159]
	v_fma_f64 v[150:151], v[202:203], s[4:5], v[158:159]
	v_mul_f64 v[158:159], v[184:185], s[20:21]
	v_add_f64 v[138:139], v[160:161], v[138:139]
	v_mul_f64 v[160:161], v[204:205], s[30:31]
	v_add_f64 v[146:147], v[150:151], v[146:147]
	v_fma_f64 v[212:213], v[206:207], s[4:5], v[160:161]
	v_fma_f64 v[150:151], v[206:207], s[4:5], -v[160:161]
	v_fma_f64 v[160:161], v[186:187], s[16:17], -v[158:159]
	v_fma_f64 v[158:159], v[186:187], s[16:17], v[158:159]
	v_add_f64 v[140:141], v[212:213], v[140:141]
	v_mul_f64 v[212:213], v[208:209], s[18:19]
	v_add_f64 v[148:149], v[150:151], v[148:149]
	v_fma_f64 v[218:219], v[210:211], s[14:15], -v[212:213]
	v_fma_f64 v[150:151], v[210:211], s[14:15], v[212:213]
	v_add_f64 v[138:139], v[218:219], v[138:139]
	v_mul_f64 v[218:219], v[214:215], s[18:19]
	v_add_f64 v[146:147], v[150:151], v[146:147]
	v_fma_f64 v[150:151], v[178:179], s[4:5], -v[154:155]
	v_fma_f64 v[154:155], v[178:179], s[4:5], v[154:155]
	v_fma_f64 v[152:153], v[216:217], s[14:15], -v[218:219]
	v_fma_f64 v[220:221], v[216:217], s[14:15], v[218:219]
	v_add_f64 v[150:151], v[150:151], v[172:173]
	v_add_f64 v[110:111], v[154:155], v[110:111]
	;; [unrolled: 1-line block ×3, first 2 shown]
	v_fma_f64 v[152:153], v[182:183], s[4:5], v[156:157]
	v_add_f64 v[150:151], v[160:161], v[150:151]
	v_mul_f64 v[160:161], v[188:189], s[20:21]
	v_fma_f64 v[156:157], v[182:183], s[4:5], -v[156:157]
	v_add_f64 v[110:111], v[158:159], v[110:111]
	v_add_f64 v[140:141], v[220:221], v[140:141]
	;; [unrolled: 1-line block ×3, first 2 shown]
	v_fma_f64 v[162:163], v[190:191], s[16:17], v[160:161]
	v_fma_f64 v[160:161], v[190:191], s[16:17], -v[160:161]
	v_add_f64 v[154:155], v[156:157], v[174:175]
	v_add_f64 v[152:153], v[162:163], v[152:153]
	v_mul_f64 v[162:163], v[192:193], s[36:37]
	v_add_f64 v[154:155], v[160:161], v[154:155]
	v_fma_f64 v[168:169], v[194:195], s[6:7], -v[162:163]
	v_fma_f64 v[156:157], v[194:195], s[6:7], v[162:163]
	v_add_f64 v[150:151], v[168:169], v[150:151]
	v_mul_f64 v[168:169], v[196:197], s[36:37]
	v_add_f64 v[110:111], v[156:157], v[110:111]
	v_fma_f64 v[170:171], v[198:199], s[6:7], v[168:169]
	v_fma_f64 v[162:163], v[198:199], s[6:7], -v[168:169]
	v_add_f64 v[152:153], v[170:171], v[152:153]
	v_mul_f64 v[170:171], v[200:201], s[18:19]
	v_add_f64 v[154:155], v[162:163], v[154:155]
	v_fma_f64 v[162:163], v[216:217], s[8:9], -v[180:181]
	v_fma_f64 v[172:173], v[202:203], s[14:15], -v[170:171]
	v_fma_f64 v[158:159], v[202:203], s[14:15], v[170:171]
	v_add_f64 v[150:151], v[172:173], v[150:151]
	v_mul_f64 v[172:173], v[204:205], s[18:19]
	v_add_f64 v[110:111], v[158:159], v[110:111]
	v_fma_f64 v[176:177], v[206:207], s[14:15], v[172:173]
	v_fma_f64 v[160:161], v[206:207], s[14:15], -v[172:173]
	v_add_f64 v[152:153], v[176:177], v[152:153]
	v_mul_f64 v[176:177], v[208:209], s[28:29]
	v_add_f64 v[158:159], v[160:161], v[154:155]
	v_fma_f64 v[184:185], v[210:211], s[8:9], -v[176:177]
	v_fma_f64 v[156:157], v[210:211], s[8:9], v[176:177]
	v_add_f64 v[150:151], v[184:185], v[150:151]
	v_fma_f64 v[184:185], v[216:217], s[8:9], v[180:181]
	v_add_f64 v[154:155], v[156:157], v[110:111]
	v_add_f64 v[156:157], v[162:163], v[158:159]
	;; [unrolled: 1-line block ×4, first 2 shown]
	ds_write_b128 v12, v[96:99] offset:416
	ds_write_b128 v12, v[106:109] offset:832
	ds_write_b128 v12, v[122:125] offset:1248
	ds_write_b128 v12, v[130:133] offset:1664
	ds_write_b128 v12, v[138:141] offset:2080
	ds_write_b128 v12, v[150:153] offset:2496
	ds_write_b128 v12, v[154:157] offset:2912
	ds_write_b128 v12, v[146:149] offset:3328
	ds_write_b128 v12, v[134:137] offset:3744
	ds_write_b128 v12, v[126:129] offset:4160
	ds_write_b128 v12, v[118:121] offset:4576
	ds_write_b128 v12, v[102:105] offset:4992
	ds_write_b128 v12, v[8:11]
	v_add_f64 v[8:9], v[6:7], -v[78:79]
	v_add_f64 v[130:131], v[82:83], -v[70:71]
	;; [unrolled: 1-line block ×7, first 2 shown]
	v_add_f64 v[106:107], v[66:67], v[46:47]
	v_add_f64 v[134:135], v[62:63], -v[50:51]
	v_add_f64 v[108:109], v[60:61], v[48:49]
	v_add_f64 v[136:137], v[60:61], -v[48:49]
	v_add_f64 v[138:139], v[58:59], -v[54:55]
	v_add_f64 v[118:119], v[56:57], v[52:53]
	v_add_f64 v[140:141], v[56:57], -v[52:53]
	v_add_f64 v[120:121], v[58:59], v[54:55]
	v_mul_f64 v[16:17], v[8:9], s[18:19]
	v_mul_f64 v[10:11], v[8:9], s[44:45]
	;; [unrolled: 1-line block ×11, first 2 shown]
	v_fma_f64 v[28:29], v[20:21], s[14:15], -v[16:17]
	v_fma_f64 v[32:33], v[20:21], s[14:15], v[16:17]
	v_add_f64 v[16:17], v[4:5], -v[72:73]
	v_fma_f64 v[22:23], v[20:21], s[4:5], -v[10:11]
	v_fma_f64 v[10:11], v[20:21], s[4:5], v[10:11]
	v_fma_f64 v[24:25], v[20:21], s[6:7], -v[12:13]
	v_fma_f64 v[12:13], v[20:21], s[6:7], v[12:13]
	v_fma_f64 v[26:27], v[20:21], s[8:9], -v[14:15]
	v_fma_f64 v[14:15], v[20:21], s[8:9], v[14:15]
	v_fma_f64 v[34:35], v[20:21], s[16:17], -v[18:19]
	v_fma_f64 v[36:37], v[20:21], s[16:17], v[18:19]
	v_fma_f64 v[88:89], v[20:21], s[24:25], -v[8:9]
	v_fma_f64 v[8:9], v[20:21], s[24:25], v[8:9]
	v_mul_f64 v[18:19], v[16:17], s[44:45]
	v_mul_f64 v[20:21], v[16:17], s[22:23]
	;; [unrolled: 1-line block ×6, first 2 shown]
	v_add_f64 v[146:147], v[0:1], v[10:11]
	v_add_f64 v[150:151], v[0:1], v[24:25]
	;; [unrolled: 1-line block ×4, first 2 shown]
	v_mul_f64 v[12:13], v[124:125], s[26:27]
	v_fma_f64 v[90:91], v[86:87], s[4:5], v[18:19]
	v_fma_f64 v[18:19], v[86:87], s[4:5], -v[18:19]
	v_fma_f64 v[92:93], v[86:87], s[6:7], v[20:21]
	v_fma_f64 v[20:21], v[86:87], s[6:7], -v[20:21]
	;; [unrolled: 2-line block ×6, first 2 shown]
	v_add_f64 v[86:87], v[0:1], v[4:5]
	v_add_f64 v[4:5], v[0:1], v[22:23]
	;; [unrolled: 1-line block ×18, first 2 shown]
	v_mul_f64 v[0:1], v[130:131], s[22:23]
	v_add_f64 v[152:153], v[2:3], v[92:93]
	v_add_f64 v[32:33], v[2:3], v[98:99]
	;; [unrolled: 1-line block ×8, first 2 shown]
	v_mul_f64 v[14:15], v[126:127], s[26:27]
	v_add_f64 v[104:105], v[64:65], v[44:45]
	v_add_f64 v[80:81], v[86:87], v[80:81]
	;; [unrolled: 1-line block ×3, first 2 shown]
	v_fma_f64 v[2:3], v[96:97], s[6:7], -v[0:1]
	v_fma_f64 v[0:1], v[96:97], s[6:7], v[0:1]
	v_add_f64 v[74:75], v[80:81], v[74:75]
	v_add_f64 v[76:77], v[82:83], v[76:77]
	;; [unrolled: 1-line block ×3, first 2 shown]
	v_mul_f64 v[4:5], v[122:123], s[22:23]
	v_add_f64 v[0:1], v[0:1], v[146:147]
	v_mul_f64 v[146:147], v[122:123], s[18:19]
	v_add_f64 v[64:65], v[74:75], v[64:65]
	v_add_f64 v[66:67], v[76:77], v[66:67]
	v_fma_f64 v[8:9], v[98:99], s[6:7], v[4:5]
	v_fma_f64 v[4:5], v[98:99], s[6:7], -v[4:5]
	v_add_f64 v[60:61], v[64:65], v[60:61]
	v_add_f64 v[62:63], v[66:67], v[62:63]
	;; [unrolled: 1-line block ×3, first 2 shown]
	v_fma_f64 v[8:9], v[100:101], s[8:9], -v[12:13]
	v_add_f64 v[4:5], v[4:5], v[148:149]
	v_mul_f64 v[148:149], v[124:125], s[34:35]
	v_add_f64 v[56:57], v[60:61], v[56:57]
	v_add_f64 v[58:59], v[62:63], v[58:59]
	v_add_f64 v[2:3], v[8:9], v[2:3]
	v_fma_f64 v[8:9], v[102:103], s[8:9], v[14:15]
	v_add_f64 v[52:53], v[56:57], v[52:53]
	v_add_f64 v[54:55], v[58:59], v[54:55]
	;; [unrolled: 1-line block ×3, first 2 shown]
	v_fma_f64 v[8:9], v[104:105], s[14:15], -v[158:159]
	v_add_f64 v[48:49], v[52:53], v[48:49]
	v_add_f64 v[50:51], v[54:55], v[50:51]
	;; [unrolled: 1-line block ×3, first 2 shown]
	v_fma_f64 v[8:9], v[106:107], s[14:15], v[160:161]
	v_add_f64 v[44:45], v[48:49], v[44:45]
	v_add_f64 v[46:47], v[50:51], v[46:47]
	;; [unrolled: 1-line block ×3, first 2 shown]
	v_fma_f64 v[8:9], v[108:109], s[16:17], -v[162:163]
	v_add_f64 v[40:41], v[44:45], v[40:41]
	v_add_f64 v[42:43], v[46:47], v[42:43]
	v_mov_b32_e32 v44, 0x1520
	v_mov_b32_e32 v45, 4
	v_mul_u32_u24_sdwa v44, v144, v44 dst_sel:DWORD dst_unused:UNUSED_PAD src0_sel:WORD_0 src1_sel:DWORD
	v_lshlrev_b32_sdwa v45, v45, v145 dst_sel:DWORD dst_unused:UNUSED_PAD src0_sel:DWORD src1_sel:BYTE_0
	v_add3_u32 v44, 0, v44, v45
	v_add_f64 v[2:3], v[8:9], v[2:3]
	v_fma_f64 v[8:9], v[110:111], s[16:17], v[164:165]
	v_add_f64 v[40:41], v[40:41], v[68:69]
	v_add_f64 v[42:43], v[42:43], v[70:71]
	;; [unrolled: 1-line block ×3, first 2 shown]
	v_fma_f64 v[8:9], v[118:119], s[24:25], -v[166:167]
	v_add_f64 v[40:41], v[40:41], v[72:73]
	v_add_f64 v[42:43], v[42:43], v[78:79]
	v_add_f64 v[8:9], v[8:9], v[2:3]
	v_mul_f64 v[2:3], v[140:141], s[34:35]
	v_fma_f64 v[10:11], v[120:121], s[24:25], v[2:3]
	v_fma_f64 v[2:3], v[120:121], s[24:25], -v[2:3]
	v_add_f64 v[10:11], v[10:11], v[6:7]
	v_fma_f64 v[6:7], v[100:101], s[8:9], v[12:13]
	v_fma_f64 v[12:13], v[98:99], s[14:15], v[146:147]
	v_fma_f64 v[146:147], v[98:99], s[14:15], -v[146:147]
	v_add_f64 v[0:1], v[6:7], v[0:1]
	v_fma_f64 v[6:7], v[102:103], s[8:9], -v[14:15]
	v_fma_f64 v[14:15], v[100:101], s[24:25], -v[148:149]
	v_add_f64 v[12:13], v[12:13], v[152:153]
	v_mul_f64 v[152:153], v[128:129], s[38:39]
	v_fma_f64 v[148:149], v[100:101], s[24:25], v[148:149]
	v_add_f64 v[146:147], v[146:147], v[156:157]
	v_add_f64 v[4:5], v[6:7], v[4:5]
	v_fma_f64 v[6:7], v[104:105], s[14:15], v[158:159]
	v_mul_f64 v[158:159], v[132:133], s[38:39]
	v_add_f64 v[0:1], v[6:7], v[0:1]
	v_fma_f64 v[6:7], v[106:107], s[14:15], -v[160:161]
	v_mul_f64 v[160:161], v[134:135], s[28:29]
	v_add_f64 v[4:5], v[6:7], v[4:5]
	v_fma_f64 v[6:7], v[108:109], s[16:17], v[162:163]
	v_mul_f64 v[162:163], v[136:137], s[28:29]
	v_add_f64 v[0:1], v[6:7], v[0:1]
	v_fma_f64 v[6:7], v[110:111], s[16:17], -v[164:165]
	v_mul_f64 v[164:165], v[138:139], s[30:31]
	v_add_f64 v[4:5], v[6:7], v[4:5]
	v_fma_f64 v[6:7], v[118:119], s[24:25], v[166:167]
	v_add_f64 v[2:3], v[2:3], v[4:5]
	v_mul_f64 v[4:5], v[130:131], s[18:19]
	v_add_f64 v[0:1], v[6:7], v[0:1]
	v_fma_f64 v[6:7], v[96:97], s[14:15], -v[4:5]
	v_fma_f64 v[4:5], v[96:97], s[14:15], v[4:5]
	v_add_f64 v[6:7], v[6:7], v[150:151]
	v_mul_f64 v[150:151], v[126:127], s[34:35]
	v_add_f64 v[4:5], v[4:5], v[154:155]
	v_add_f64 v[6:7], v[14:15], v[6:7]
	v_fma_f64 v[14:15], v[102:103], s[24:25], v[150:151]
	v_add_f64 v[4:5], v[148:149], v[4:5]
	v_fma_f64 v[148:149], v[102:103], s[24:25], -v[150:151]
	v_add_f64 v[12:13], v[14:15], v[12:13]
	v_fma_f64 v[14:15], v[104:105], s[16:17], -v[152:153]
	v_add_f64 v[146:147], v[148:149], v[146:147]
	v_fma_f64 v[148:149], v[104:105], s[16:17], v[152:153]
	v_add_f64 v[6:7], v[14:15], v[6:7]
	v_fma_f64 v[14:15], v[106:107], s[16:17], v[158:159]
	v_add_f64 v[4:5], v[148:149], v[4:5]
	v_fma_f64 v[148:149], v[106:107], s[16:17], -v[158:159]
	v_add_f64 v[12:13], v[14:15], v[12:13]
	v_fma_f64 v[14:15], v[108:109], s[8:9], -v[160:161]
	v_add_f64 v[146:147], v[148:149], v[146:147]
	v_fma_f64 v[148:149], v[108:109], s[8:9], v[160:161]
	;; [unrolled: 8-line block ×3, first 2 shown]
	v_mul_f64 v[164:165], v[138:139], s[20:21]
	v_add_f64 v[12:13], v[12:13], v[6:7]
	v_mul_f64 v[6:7], v[140:141], s[30:31]
	v_add_f64 v[4:5], v[148:149], v[4:5]
	v_fma_f64 v[166:167], v[120:121], s[4:5], v[6:7]
	v_fma_f64 v[6:7], v[120:121], s[4:5], -v[6:7]
	v_add_f64 v[14:15], v[166:167], v[14:15]
	v_add_f64 v[6:7], v[6:7], v[146:147]
	v_mul_f64 v[146:147], v[130:131], s[34:35]
	v_mul_f64 v[166:167], v[140:141], s[20:21]
	v_fma_f64 v[148:149], v[96:97], s[24:25], -v[146:147]
	v_fma_f64 v[146:147], v[96:97], s[24:25], v[146:147]
	v_add_f64 v[22:23], v[148:149], v[22:23]
	v_mul_f64 v[148:149], v[122:123], s[34:35]
	v_add_f64 v[18:19], v[146:147], v[18:19]
	v_fma_f64 v[150:151], v[98:99], s[24:25], v[148:149]
	v_fma_f64 v[146:147], v[98:99], s[24:25], -v[148:149]
	v_fma_f64 v[148:149], v[120:121], s[16:17], -v[166:167]
	v_add_f64 v[20:21], v[150:151], v[20:21]
	v_mul_f64 v[150:151], v[124:125], s[42:43]
	v_add_f64 v[16:17], v[146:147], v[16:17]
	v_fma_f64 v[152:153], v[100:101], s[14:15], -v[150:151]
	v_fma_f64 v[146:147], v[100:101], s[14:15], v[150:151]
	v_add_f64 v[22:23], v[152:153], v[22:23]
	v_mul_f64 v[152:153], v[126:127], s[42:43]
	v_add_f64 v[18:19], v[146:147], v[18:19]
	v_fma_f64 v[154:155], v[102:103], s[14:15], v[152:153]
	v_fma_f64 v[146:147], v[102:103], s[14:15], -v[152:153]
	v_add_f64 v[20:21], v[154:155], v[20:21]
	v_mul_f64 v[154:155], v[128:129], s[30:31]
	v_add_f64 v[16:17], v[146:147], v[16:17]
	v_fma_f64 v[156:157], v[104:105], s[4:5], -v[154:155]
	v_fma_f64 v[146:147], v[104:105], s[4:5], v[154:155]
	v_add_f64 v[22:23], v[156:157], v[22:23]
	v_mul_f64 v[156:157], v[132:133], s[30:31]
	v_add_f64 v[18:19], v[146:147], v[18:19]
	v_fma_f64 v[158:159], v[106:107], s[4:5], v[156:157]
	v_fma_f64 v[146:147], v[106:107], s[4:5], -v[156:157]
	v_add_f64 v[20:21], v[158:159], v[20:21]
	v_mul_f64 v[158:159], v[134:135], s[22:23]
	v_add_f64 v[16:17], v[146:147], v[16:17]
	v_fma_f64 v[160:161], v[108:109], s[6:7], -v[158:159]
	v_fma_f64 v[146:147], v[108:109], s[6:7], v[158:159]
	v_add_f64 v[22:23], v[160:161], v[22:23]
	v_mul_f64 v[160:161], v[136:137], s[22:23]
	v_add_f64 v[18:19], v[146:147], v[18:19]
	v_fma_f64 v[146:147], v[110:111], s[6:7], -v[160:161]
	v_fma_f64 v[162:163], v[110:111], s[6:7], v[160:161]
	v_add_f64 v[146:147], v[146:147], v[16:17]
	v_fma_f64 v[16:17], v[118:119], s[16:17], v[164:165]
	v_add_f64 v[162:163], v[162:163], v[20:21]
	v_fma_f64 v[20:21], v[118:119], s[16:17], -v[164:165]
	v_mul_f64 v[164:165], v[138:139], s[36:37]
	v_add_f64 v[16:17], v[16:17], v[18:19]
	v_add_f64 v[18:19], v[148:149], v[146:147]
	v_mul_f64 v[146:147], v[130:131], s[38:39]
	v_add_f64 v[20:21], v[20:21], v[22:23]
	v_fma_f64 v[22:23], v[120:121], s[16:17], v[166:167]
	v_mul_f64 v[166:167], v[140:141], s[36:37]
	v_fma_f64 v[148:149], v[96:97], s[16:17], -v[146:147]
	v_fma_f64 v[146:147], v[96:97], s[16:17], v[146:147]
	v_add_f64 v[22:23], v[22:23], v[162:163]
	v_add_f64 v[30:31], v[148:149], v[30:31]
	v_mul_f64 v[148:149], v[122:123], s[38:39]
	v_add_f64 v[26:27], v[146:147], v[26:27]
	v_fma_f64 v[150:151], v[98:99], s[16:17], v[148:149]
	v_fma_f64 v[146:147], v[98:99], s[16:17], -v[148:149]
	v_fma_f64 v[148:149], v[120:121], s[6:7], -v[166:167]
	v_add_f64 v[28:29], v[150:151], v[28:29]
	v_mul_f64 v[150:151], v[124:125], s[30:31]
	v_add_f64 v[24:25], v[146:147], v[24:25]
	v_fma_f64 v[152:153], v[100:101], s[4:5], -v[150:151]
	v_fma_f64 v[146:147], v[100:101], s[4:5], v[150:151]
	v_add_f64 v[30:31], v[152:153], v[30:31]
	v_mul_f64 v[152:153], v[126:127], s[30:31]
	v_add_f64 v[26:27], v[146:147], v[26:27]
	v_fma_f64 v[154:155], v[102:103], s[4:5], v[152:153]
	v_fma_f64 v[146:147], v[102:103], s[4:5], -v[152:153]
	v_add_f64 v[28:29], v[154:155], v[28:29]
	v_mul_f64 v[154:155], v[128:129], s[26:27]
	v_add_f64 v[24:25], v[146:147], v[24:25]
	v_fma_f64 v[156:157], v[104:105], s[8:9], -v[154:155]
	v_fma_f64 v[146:147], v[104:105], s[8:9], v[154:155]
	v_add_f64 v[30:31], v[156:157], v[30:31]
	v_mul_f64 v[156:157], v[132:133], s[26:27]
	v_add_f64 v[26:27], v[146:147], v[26:27]
	v_fma_f64 v[158:159], v[106:107], s[8:9], v[156:157]
	v_fma_f64 v[146:147], v[106:107], s[8:9], -v[156:157]
	v_add_f64 v[28:29], v[158:159], v[28:29]
	v_mul_f64 v[158:159], v[134:135], s[40:41]
	v_add_f64 v[24:25], v[146:147], v[24:25]
	v_fma_f64 v[160:161], v[108:109], s[24:25], -v[158:159]
	v_fma_f64 v[146:147], v[108:109], s[24:25], v[158:159]
	v_add_f64 v[30:31], v[160:161], v[30:31]
	v_mul_f64 v[160:161], v[136:137], s[40:41]
	v_add_f64 v[26:27], v[146:147], v[26:27]
	v_fma_f64 v[146:147], v[110:111], s[24:25], -v[160:161]
	v_fma_f64 v[162:163], v[110:111], s[24:25], v[160:161]
	v_add_f64 v[146:147], v[146:147], v[24:25]
	v_fma_f64 v[24:25], v[118:119], s[6:7], v[164:165]
	v_add_f64 v[162:163], v[162:163], v[28:29]
	v_fma_f64 v[28:29], v[118:119], s[6:7], -v[164:165]
	v_mul_f64 v[164:165], v[138:139], s[18:19]
	v_mul_f64 v[138:139], v[138:139], s[28:29]
	v_add_f64 v[24:25], v[24:25], v[26:27]
	v_add_f64 v[26:27], v[148:149], v[146:147]
	v_mul_f64 v[146:147], v[130:131], s[28:29]
	v_add_f64 v[28:29], v[28:29], v[30:31]
	v_fma_f64 v[30:31], v[120:121], s[6:7], v[166:167]
	v_mul_f64 v[166:167], v[140:141], s[18:19]
	v_mul_f64 v[130:131], v[130:131], s[30:31]
	;; [unrolled: 1-line block ×3, first 2 shown]
	v_fma_f64 v[148:149], v[96:97], s[8:9], -v[146:147]
	v_fma_f64 v[146:147], v[96:97], s[8:9], v[146:147]
	v_add_f64 v[30:31], v[30:31], v[162:163]
	v_add_f64 v[34:35], v[148:149], v[34:35]
	v_mul_f64 v[148:149], v[122:123], s[28:29]
	v_add_f64 v[38:39], v[146:147], v[38:39]
	v_mul_f64 v[122:123], v[122:123], s[30:31]
	v_fma_f64 v[150:151], v[98:99], s[8:9], v[148:149]
	v_fma_f64 v[146:147], v[98:99], s[8:9], -v[148:149]
	v_fma_f64 v[148:149], v[120:121], s[14:15], -v[166:167]
	v_add_f64 v[32:33], v[150:151], v[32:33]
	v_mul_f64 v[150:151], v[124:125], s[22:23]
	v_add_f64 v[36:37], v[146:147], v[36:37]
	v_mul_f64 v[124:125], v[124:125], s[20:21]
	v_fma_f64 v[152:153], v[100:101], s[6:7], -v[150:151]
	v_fma_f64 v[146:147], v[100:101], s[6:7], v[150:151]
	v_add_f64 v[34:35], v[152:153], v[34:35]
	v_mul_f64 v[152:153], v[126:127], s[22:23]
	v_add_f64 v[38:39], v[146:147], v[38:39]
	v_mul_f64 v[126:127], v[126:127], s[20:21]
	v_fma_f64 v[154:155], v[102:103], s[6:7], v[152:153]
	v_fma_f64 v[146:147], v[102:103], s[6:7], -v[152:153]
	v_add_f64 v[32:33], v[154:155], v[32:33]
	v_mul_f64 v[154:155], v[128:129], s[40:41]
	v_add_f64 v[36:37], v[146:147], v[36:37]
	v_mul_f64 v[128:129], v[128:129], s[36:37]
	v_fma_f64 v[156:157], v[104:105], s[24:25], -v[154:155]
	v_fma_f64 v[146:147], v[104:105], s[24:25], v[154:155]
	v_add_f64 v[34:35], v[156:157], v[34:35]
	v_mul_f64 v[156:157], v[132:133], s[40:41]
	v_add_f64 v[38:39], v[146:147], v[38:39]
	v_mul_f64 v[132:133], v[132:133], s[36:37]
	v_fma_f64 v[158:159], v[106:107], s[24:25], v[156:157]
	v_fma_f64 v[146:147], v[106:107], s[24:25], -v[156:157]
	v_add_f64 v[32:33], v[158:159], v[32:33]
	v_mul_f64 v[158:159], v[134:135], s[30:31]
	v_add_f64 v[36:37], v[146:147], v[36:37]
	v_mul_f64 v[134:135], v[134:135], s[18:19]
	v_fma_f64 v[160:161], v[108:109], s[4:5], -v[158:159]
	v_fma_f64 v[146:147], v[108:109], s[4:5], v[158:159]
	v_add_f64 v[34:35], v[160:161], v[34:35]
	v_mul_f64 v[160:161], v[136:137], s[30:31]
	v_add_f64 v[38:39], v[146:147], v[38:39]
	v_mul_f64 v[136:137], v[136:137], s[18:19]
	v_fma_f64 v[146:147], v[110:111], s[4:5], -v[160:161]
	v_fma_f64 v[162:163], v[110:111], s[4:5], v[160:161]
	v_add_f64 v[146:147], v[146:147], v[36:37]
	v_fma_f64 v[36:37], v[118:119], s[14:15], v[164:165]
	v_add_f64 v[162:163], v[162:163], v[32:33]
	v_fma_f64 v[32:33], v[118:119], s[14:15], -v[164:165]
	v_add_f64 v[36:37], v[36:37], v[38:39]
	v_add_f64 v[38:39], v[148:149], v[146:147]
	v_fma_f64 v[146:147], v[96:97], s[4:5], -v[130:131]
	v_fma_f64 v[96:97], v[96:97], s[4:5], v[130:131]
	v_add_f64 v[32:33], v[32:33], v[34:35]
	v_fma_f64 v[34:35], v[120:121], s[14:15], v[166:167]
	v_add_f64 v[94:95], v[146:147], v[94:95]
	v_fma_f64 v[146:147], v[98:99], s[4:5], v[122:123]
	v_fma_f64 v[98:99], v[98:99], s[4:5], -v[122:123]
	v_add_f64 v[88:89], v[96:97], v[88:89]
	v_fma_f64 v[96:97], v[104:105], s[6:7], v[128:129]
	v_add_f64 v[34:35], v[34:35], v[162:163]
	v_add_f64 v[92:93], v[146:147], v[92:93]
	v_fma_f64 v[146:147], v[100:101], s[16:17], -v[124:125]
	v_fma_f64 v[100:101], v[100:101], s[16:17], v[124:125]
	v_add_f64 v[90:91], v[98:99], v[90:91]
	v_fma_f64 v[98:99], v[106:107], s[6:7], -v[132:133]
	v_add_f64 v[94:95], v[146:147], v[94:95]
	v_fma_f64 v[146:147], v[102:103], s[16:17], v[126:127]
	v_fma_f64 v[102:103], v[102:103], s[16:17], -v[126:127]
	v_add_f64 v[88:89], v[100:101], v[88:89]
	v_fma_f64 v[100:101], v[108:109], s[14:15], v[134:135]
	v_add_f64 v[92:93], v[146:147], v[92:93]
	v_fma_f64 v[146:147], v[104:105], s[6:7], -v[128:129]
	v_add_f64 v[90:91], v[102:103], v[90:91]
	v_fma_f64 v[102:103], v[110:111], s[14:15], -v[136:137]
	v_add_f64 v[88:89], v[96:97], v[88:89]
	v_fma_f64 v[96:97], v[118:119], s[8:9], v[138:139]
	v_add_f64 v[94:95], v[146:147], v[94:95]
	v_fma_f64 v[146:147], v[106:107], s[6:7], v[132:133]
	v_add_f64 v[90:91], v[98:99], v[90:91]
	v_fma_f64 v[98:99], v[120:121], s[8:9], -v[140:141]
	v_add_f64 v[88:89], v[100:101], v[88:89]
	v_add_f64 v[92:93], v[146:147], v[92:93]
	v_fma_f64 v[146:147], v[108:109], s[14:15], -v[134:135]
	v_add_f64 v[90:91], v[102:103], v[90:91]
	v_add_f64 v[88:89], v[96:97], v[88:89]
	;; [unrolled: 1-line block ×3, first 2 shown]
	v_fma_f64 v[146:147], v[110:111], s[14:15], v[136:137]
	v_add_f64 v[90:91], v[98:99], v[90:91]
	v_add_f64 v[146:147], v[146:147], v[92:93]
	v_fma_f64 v[92:93], v[118:119], s[8:9], -v[138:139]
	v_add_f64 v[92:93], v[92:93], v[94:95]
	v_fma_f64 v[94:95], v[120:121], s[8:9], v[140:141]
	v_add_f64 v[94:95], v[94:95], v[146:147]
	ds_write_b128 v44, v[40:43]
	ds_write_b128 v44, v[8:11] offset:416
	ds_write_b128 v44, v[12:15] offset:832
	;; [unrolled: 1-line block ×12, first 2 shown]
	s_waitcnt lgkmcnt(0)
	s_barrier
	buffer_gl0_inv
	ds_read_b128 v[28:31], v142
	ds_read_b128 v[16:19], v142 offset:832
	ds_read_b128 v[100:103], v142 offset:5408
	;; [unrolled: 1-line block ×23, first 2 shown]
                                        ; implicit-def: $vgpr10_vgpr11
                                        ; implicit-def: $vgpr14_vgpr15
	s_and_saveexec_b32 s1, s0
	s_cbranch_execz .LBB0_21
; %bb.20:
	ds_read_b128 v[4:7], v142 offset:4992
	ds_read_b128 v[0:3], v142 offset:10400
	;; [unrolled: 1-line block ×4, first 2 shown]
	v_mov_b32_e32 v143, v115
.LBB0_21:
	s_or_b32 exec_lo, exec_lo, s1
	v_mul_u32_u24_e32 v115, 3, v114
	v_lshlrev_b32_e32 v115, 4, v115
	v_add_co_u32 v144, s1, s12, v115
	v_add_co_ci_u32_e64 v145, null, s13, 0, s1
	v_add_nc_u32_e32 v162, 0x2700, v115
	v_add_co_u32 v122, s1, 0x1500, v144
	v_add_co_ci_u32_e64 v123, s1, 0, v145, s1
	v_add_co_u32 v138, s1, 0x1ec0, v144
	v_add_co_ci_u32_e64 v139, s1, 0, v145, s1
	v_add_co_u32 v126, s1, 0x1800, v144
	v_add_co_ci_u32_e64 v127, s1, 0, v145, s1
	v_add_co_u32 v134, s1, 0x1000, v144
	v_add_co_ci_u32_e64 v135, s1, 0, v145, s1
	v_add_co_u32 v148, s1, 0x2880, v144
	v_add_co_ci_u32_e64 v149, s1, 0, v145, s1
	v_add_co_u32 v160, s1, 0x2800, v144
	v_add_co_ci_u32_e64 v161, s1, 0, v145, s1
	v_add_co_u32 v152, s1, 0x3000, v144
	v_add_co_ci_u32_e64 v153, s1, 0, v145, s1
	v_add_co_u32 v164, s1, 0x3240, v144
	v_add_co_ci_u32_e64 v165, s1, 0, v145, s1
	v_add_co_u32 v170, s1, s12, v162
	v_add_co_ci_u32_e64 v171, null, s13, 0, s1
	v_add_nc_u32_e32 v115, 0x30c0, v115
	v_add_co_u32 v168, s1, 0x1000, v170
	v_add_co_ci_u32_e64 v169, s1, 0, v171, s1
	v_add_co_u32 v176, s1, 0x1500, v170
	v_add_co_ci_u32_e64 v177, s1, 0, v171, s1
	v_add_co_u32 v115, s1, s12, v115
	v_add_co_ci_u32_e64 v178, null, s13, 0, s1
	s_clause 0x5
	global_load_dwordx4 v[118:121], v[122:123], off offset:32
	global_load_dwordx4 v[122:125], v[122:123], off offset:16
	;; [unrolled: 1-line block ×6, first 2 shown]
	v_add_co_u32 v180, s1, 0x1000, v115
	v_add_co_ci_u32_e64 v181, s1, 0, v178, s1
	v_add_co_u32 v188, s1, 0x1500, v115
	v_add_co_ci_u32_e64 v189, s1, 0, v178, s1
	s_clause 0xb
	global_load_dwordx4 v[144:147], v[148:149], off offset:32
	global_load_dwordx4 v[148:151], v[148:149], off offset:16
	;; [unrolled: 1-line block ×12, first 2 shown]
	s_waitcnt vmcnt(0) lgkmcnt(0)
	s_barrier
	buffer_gl0_inv
	v_mul_f64 v[196:197], v[110:111], v[120:121]
	v_mul_f64 v[194:195], v[106:107], v[124:125]
	;; [unrolled: 1-line block ×36, first 2 shown]
	v_fma_f64 v[100:101], v[100:101], v[134:135], -v[192:193]
	v_fma_f64 v[102:103], v[102:103], v[134:135], v[136:137]
	v_fma_f64 v[104:105], v[104:105], v[122:123], -v[194:195]
	v_fma_f64 v[106:107], v[106:107], v[122:123], v[124:125]
	;; [unrolled: 2-line block ×18, first 2 shown]
	v_add_f64 v[104:105], v[28:29], -v[104:105]
	v_add_f64 v[106:107], v[30:31], -v[106:107]
	;; [unrolled: 1-line block ×24, first 2 shown]
	v_fma_f64 v[122:123], v[28:29], 2.0, -v[104:105]
	v_fma_f64 v[124:125], v[30:31], 2.0, -v[106:107]
	;; [unrolled: 1-line block ×8, first 2 shown]
	v_add_f64 v[28:29], v[104:105], -v[110:111]
	v_add_f64 v[30:31], v[106:107], v[108:109]
	v_add_f64 v[16:17], v[68:69], -v[72:73]
	v_add_f64 v[18:19], v[118:119], v[70:71]
	v_fma_f64 v[108:109], v[24:25], 2.0, -v[74:75]
	v_fma_f64 v[110:111], v[26:27], 2.0, -v[92:93]
	;; [unrolled: 1-line block ×4, first 2 shown]
	v_add_f64 v[24:25], v[74:75], -v[96:97]
	v_fma_f64 v[96:97], v[20:21], 2.0, -v[98:99]
	v_fma_f64 v[126:127], v[22:23], 2.0, -v[120:121]
	;; [unrolled: 1-line block ×12, first 2 shown]
	v_add_f64 v[26:27], v[92:93], v[94:95]
	v_add_f64 v[20:21], v[98:99], -v[58:59]
	v_add_f64 v[22:23], v[120:121], v[56:57]
	v_add_f64 v[32:33], v[80:81], -v[62:63]
	v_add_f64 v[34:35], v[82:83], v[60:61]
	v_add_f64 v[36:37], v[84:85], -v[46:47]
	v_add_f64 v[38:39], v[86:87], v[44:45]
	v_add_f64 v[40:41], v[122:123], -v[48:49]
	v_add_f64 v[42:43], v[124:125], -v[50:51]
	v_add_f64 v[48:49], v[100:101], -v[64:65]
	;; [unrolled: 1-line block ×7, first 2 shown]
	v_fma_f64 v[52:53], v[68:69], 2.0, -v[16:17]
	v_add_f64 v[64:65], v[128:129], -v[76:77]
	v_add_f64 v[66:67], v[130:131], -v[78:79]
	v_fma_f64 v[44:45], v[104:105], 2.0, -v[28:29]
	v_fma_f64 v[46:47], v[106:107], 2.0, -v[30:31]
	v_add_f64 v[68:69], v[132:133], -v[90:91]
	v_add_f64 v[70:71], v[134:135], -v[136:137]
	v_fma_f64 v[54:55], v[118:119], 2.0, -v[18:19]
	v_fma_f64 v[72:73], v[74:75], 2.0, -v[24:25]
	;; [unrolled: 1-line block ×5, first 2 shown]
	ds_write_b128 v142, v[28:31] offset:16224
	v_fma_f64 v[28:29], v[80:81], 2.0, -v[32:33]
	v_fma_f64 v[30:31], v[82:83], 2.0, -v[34:35]
	;; [unrolled: 1-line block ×16, first 2 shown]
	ds_write_b128 v142, v[16:19] offset:17056
	ds_write_b128 v142, v[24:27] offset:17888
	;; [unrolled: 1-line block ×16, first 2 shown]
	ds_write_b128 v142, v[84:87]
	ds_write_b128 v142, v[88:91] offset:832
	ds_write_b128 v142, v[92:95] offset:1664
	;; [unrolled: 1-line block ×6, first 2 shown]
	s_and_saveexec_b32 s1, s0
	s_cbranch_execz .LBB0_23
; %bb.22:
	v_mul_i32_i24_e32 v16, 3, v143
	v_mov_b32_e32 v17, 0
	v_lshlrev_b64 v[16:17], 4, v[16:17]
	v_add_co_u32 v16, s0, s12, v16
	v_add_co_ci_u32_e64 v17, s0, s13, v17, s0
	v_add_co_u32 v24, s0, 0x1500, v16
	v_add_co_ci_u32_e64 v25, s0, 0, v17, s0
	;; [unrolled: 2-line block ×3, first 2 shown]
	s_clause 0x2
	global_load_dwordx4 v[16:19], v[24:25], off offset:16
	global_load_dwordx4 v[20:23], v[20:21], off offset:1280
	;; [unrolled: 1-line block ×3, first 2 shown]
	s_waitcnt vmcnt(2)
	v_mul_f64 v[28:29], v[8:9], v[18:19]
	s_waitcnt vmcnt(1)
	v_mul_f64 v[30:31], v[2:3], v[22:23]
	v_mul_f64 v[22:23], v[0:1], v[22:23]
	s_waitcnt vmcnt(0)
	v_mul_f64 v[32:33], v[12:13], v[26:27]
	v_mul_f64 v[18:19], v[10:11], v[18:19]
	v_mul_f64 v[26:27], v[14:15], v[26:27]
	v_fma_f64 v[10:11], v[10:11], v[16:17], v[28:29]
	v_fma_f64 v[0:1], v[0:1], v[20:21], -v[30:31]
	v_fma_f64 v[2:3], v[2:3], v[20:21], v[22:23]
	v_fma_f64 v[14:15], v[14:15], v[24:25], v[32:33]
	v_fma_f64 v[8:9], v[8:9], v[16:17], -v[18:19]
	v_fma_f64 v[12:13], v[12:13], v[24:25], -v[26:27]
	v_add_f64 v[10:11], v[6:7], -v[10:11]
	v_add_f64 v[14:15], v[2:3], -v[14:15]
	;; [unrolled: 1-line block ×4, first 2 shown]
	v_fma_f64 v[16:17], v[6:7], 2.0, -v[10:11]
	v_fma_f64 v[6:7], v[2:3], 2.0, -v[14:15]
	;; [unrolled: 1-line block ×4, first 2 shown]
	v_add_f64 v[2:3], v[10:11], v[12:13]
	v_add_f64 v[0:1], v[8:9], -v[14:15]
	v_add_f64 v[6:7], v[16:17], -v[6:7]
	;; [unrolled: 1-line block ×3, first 2 shown]
	v_fma_f64 v[10:11], v[10:11], 2.0, -v[2:3]
	v_fma_f64 v[8:9], v[8:9], 2.0, -v[0:1]
	;; [unrolled: 1-line block ×4, first 2 shown]
	ds_write_b128 v142, v[8:11] offset:10400
	ds_write_b128 v142, v[4:7] offset:15808
	;; [unrolled: 1-line block ×4, first 2 shown]
.LBB0_23:
	s_or_b32 exec_lo, exec_lo, s1
	s_waitcnt lgkmcnt(0)
	s_barrier
	buffer_gl0_inv
	s_and_saveexec_b32 s0, vcc_lo
	s_cbranch_execz .LBB0_25
; %bb.24:
	v_mul_lo_u32 v2, s3, v116
	v_mul_lo_u32 v3, s2, v117
	v_mad_u64_u32 v[0:1], null, s2, v116, 0
	v_lshl_add_u32 v30, v114, 4, 0
	v_mov_b32_e32 v115, 0
	v_lshlrev_b64 v[8:9], 4, v[112:113]
	v_add_nc_u32_e32 v10, 52, v114
	v_add_nc_u32_e32 v16, 0x68, v114
	;; [unrolled: 1-line block ×3, first 2 shown]
	v_add3_u32 v1, v1, v3, v2
	v_lshlrev_b64 v[14:15], 4, v[114:115]
	v_mov_b32_e32 v11, v115
	v_mov_b32_e32 v17, v115
	;; [unrolled: 1-line block ×3, first 2 shown]
	v_lshlrev_b64 v[12:13], 4, v[0:1]
	ds_read_b128 v[0:3], v30
	ds_read_b128 v[4:7], v30 offset:832
	v_lshlrev_b64 v[22:23], 4, v[10:11]
	v_lshlrev_b64 v[16:17], 4, v[16:17]
	;; [unrolled: 1-line block ×3, first 2 shown]
	v_add_nc_u32_e32 v24, 0xd0, v114
	v_add_co_u32 v12, vcc_lo, s10, v12
	v_add_co_ci_u32_e32 v13, vcc_lo, s11, v13, vcc_lo
	v_mov_b32_e32 v25, v115
	v_add_co_u32 v31, vcc_lo, v12, v8
	v_add_co_ci_u32_e32 v32, vcc_lo, v13, v9, vcc_lo
	v_add_nc_u32_e32 v28, 0x104, v114
	v_add_co_u32 v20, vcc_lo, v31, v14
	v_add_co_ci_u32_e32 v21, vcc_lo, v32, v15, vcc_lo
	ds_read_b128 v[8:11], v30 offset:1664
	ds_read_b128 v[12:15], v30 offset:2496
	v_mov_b32_e32 v29, v115
	v_lshlrev_b64 v[24:25], 4, v[24:25]
	s_waitcnt lgkmcnt(3)
	global_store_dwordx4 v[20:21], v[0:3], off
	v_add_co_u32 v20, vcc_lo, v31, v22
	v_add_co_ci_u32_e32 v21, vcc_lo, v32, v23, vcc_lo
	v_add_co_u32 v22, vcc_lo, v31, v16
	v_add_co_ci_u32_e32 v23, vcc_lo, v32, v17, vcc_lo
	v_add_co_u32 v26, vcc_lo, v31, v18
	ds_read_b128 v[0:3], v30 offset:3328
	v_add_co_ci_u32_e32 v27, vcc_lo, v32, v19, vcc_lo
	ds_read_b128 v[16:19], v30 offset:4160
	s_waitcnt lgkmcnt(4)
	global_store_dwordx4 v[20:21], v[4:7], off
	s_waitcnt lgkmcnt(3)
	global_store_dwordx4 v[22:23], v[8:11], off
	;; [unrolled: 2-line block ×3, first 2 shown]
	v_lshlrev_b64 v[4:5], 4, v[28:29]
	v_add_co_u32 v6, vcc_lo, v31, v24
	v_add_co_ci_u32_e32 v7, vcc_lo, v32, v25, vcc_lo
	v_add_nc_u32_e32 v8, 0x138, v114
	v_add_co_u32 v4, vcc_lo, v31, v4
	v_mov_b32_e32 v9, v115
	v_add_co_ci_u32_e32 v5, vcc_lo, v32, v5, vcc_lo
	v_add_nc_u32_e32 v10, 0x16c, v114
	v_mov_b32_e32 v11, v115
	v_lshlrev_b64 v[12:13], 4, v[8:9]
	s_waitcnt lgkmcnt(1)
	global_store_dwordx4 v[6:7], v[0:3], off
	v_add_nc_u32_e32 v26, 0x1d4, v114
	s_waitcnt lgkmcnt(0)
	global_store_dwordx4 v[4:5], v[16:19], off
	ds_read_b128 v[0:3], v30 offset:4992
	ds_read_b128 v[4:7], v30 offset:5824
	v_add_nc_u32_e32 v16, 0x1a0, v114
	v_mov_b32_e32 v17, v115
	v_lshlrev_b64 v[14:15], 4, v[10:11]
	ds_read_b128 v[8:11], v30 offset:6656
	v_add_co_u32 v20, vcc_lo, v31, v12
	v_add_co_ci_u32_e32 v21, vcc_lo, v32, v13, vcc_lo
	v_lshlrev_b64 v[12:13], 4, v[16:17]
	v_add_co_u32 v22, vcc_lo, v31, v14
	v_add_co_ci_u32_e32 v23, vcc_lo, v32, v15, vcc_lo
	v_mov_b32_e32 v27, v115
	v_add_co_u32 v24, vcc_lo, v31, v12
	v_add_co_ci_u32_e32 v25, vcc_lo, v32, v13, vcc_lo
	ds_read_b128 v[12:15], v30 offset:7488
	ds_read_b128 v[16:19], v30 offset:8320
	v_add_nc_u32_e32 v28, 0x208, v114
	v_lshlrev_b64 v[26:27], 4, v[26:27]
	s_waitcnt lgkmcnt(4)
	global_store_dwordx4 v[20:21], v[0:3], off
	s_waitcnt lgkmcnt(3)
	global_store_dwordx4 v[22:23], v[4:7], off
	;; [unrolled: 2-line block ×3, first 2 shown]
	v_add_nc_u32_e32 v6, 0x23c, v114
	v_mov_b32_e32 v7, v115
	v_lshlrev_b64 v[0:1], 4, v[28:29]
	v_add_nc_u32_e32 v8, 0x270, v114
	v_add_co_u32 v2, vcc_lo, v31, v26
	v_add_co_ci_u32_e32 v3, vcc_lo, v32, v27, vcc_lo
	v_add_co_u32 v4, vcc_lo, v31, v0
	v_add_co_ci_u32_e32 v5, vcc_lo, v32, v1, vcc_lo
	v_mov_b32_e32 v9, v115
	v_add_nc_u32_e32 v24, 0x2d8, v114
	v_mov_b32_e32 v25, v115
	s_waitcnt lgkmcnt(1)
	global_store_dwordx4 v[2:3], v[12:15], off
	s_waitcnt lgkmcnt(0)
	global_store_dwordx4 v[4:5], v[16:19], off
	v_lshlrev_b64 v[12:13], 4, v[6:7]
	ds_read_b128 v[0:3], v30 offset:9152
	v_lshlrev_b64 v[14:15], 4, v[8:9]
	v_add_nc_u32_e32 v16, 0x2a4, v114
	v_mov_b32_e32 v17, v115
	ds_read_b128 v[4:7], v30 offset:9984
	ds_read_b128 v[8:11], v30 offset:10816
	v_add_co_u32 v20, vcc_lo, v31, v12
	v_add_co_ci_u32_e32 v21, vcc_lo, v32, v13, vcc_lo
	v_lshlrev_b64 v[16:17], 4, v[16:17]
	v_add_co_u32 v22, vcc_lo, v31, v14
	v_add_co_ci_u32_e32 v23, vcc_lo, v32, v15, vcc_lo
	ds_read_b128 v[12:15], v30 offset:11648
	v_add_co_u32 v26, vcc_lo, v31, v16
	v_add_co_ci_u32_e32 v27, vcc_lo, v32, v17, vcc_lo
	ds_read_b128 v[16:19], v30 offset:12480
	v_add_nc_u32_e32 v28, 0x30c, v114
	v_lshlrev_b64 v[24:25], 4, v[24:25]
	s_waitcnt lgkmcnt(4)
	global_store_dwordx4 v[20:21], v[0:3], off
	s_waitcnt lgkmcnt(3)
	global_store_dwordx4 v[22:23], v[4:7], off
	;; [unrolled: 2-line block ×3, first 2 shown]
	v_lshlrev_b64 v[0:1], 4, v[28:29]
	v_add_nc_u32_e32 v4, 0x340, v114
	v_add_co_u32 v2, vcc_lo, v31, v24
	v_add_co_ci_u32_e32 v3, vcc_lo, v32, v25, vcc_lo
	v_add_co_u32 v0, vcc_lo, v31, v0
	v_add_co_ci_u32_e32 v1, vcc_lo, v32, v1, vcc_lo
	v_mov_b32_e32 v5, v115
	v_add_nc_u32_e32 v8, 0x374, v114
	v_mov_b32_e32 v9, v115
	s_waitcnt lgkmcnt(1)
	global_store_dwordx4 v[2:3], v[12:15], off
	s_waitcnt lgkmcnt(0)
	global_store_dwordx4 v[0:1], v[16:19], off
	v_lshlrev_b64 v[12:13], 4, v[4:5]
	ds_read_b128 v[0:3], v30 offset:13312
	ds_read_b128 v[4:7], v30 offset:14144
	v_lshlrev_b64 v[14:15], 4, v[8:9]
	ds_read_b128 v[8:11], v30 offset:14976
	v_add_nc_u32_e32 v16, 0x3a8, v114
	v_mov_b32_e32 v17, v115
	v_add_co_u32 v20, vcc_lo, v31, v12
	v_add_co_ci_u32_e32 v21, vcc_lo, v32, v13, vcc_lo
	v_lshlrev_b64 v[12:13], 4, v[16:17]
	v_add_nc_u32_e32 v16, 0x3dc, v114
	v_add_co_u32 v22, vcc_lo, v31, v14
	v_add_co_ci_u32_e32 v23, vcc_lo, v32, v15, vcc_lo
	v_lshlrev_b64 v[26:27], 4, v[16:17]
	ds_read_b128 v[16:19], v30 offset:16640
	v_add_co_u32 v24, vcc_lo, v31, v12
	v_add_nc_u32_e32 v28, 0x410, v114
	v_add_co_ci_u32_e32 v25, vcc_lo, v32, v13, vcc_lo
	ds_read_b128 v[12:15], v30 offset:15808
	s_waitcnt lgkmcnt(4)
	global_store_dwordx4 v[20:21], v[0:3], off
	s_waitcnt lgkmcnt(3)
	global_store_dwordx4 v[22:23], v[4:7], off
	;; [unrolled: 2-line block ×3, first 2 shown]
	v_lshlrev_b64 v[0:1], 4, v[28:29]
	v_add_co_u32 v2, vcc_lo, v31, v26
	v_add_co_ci_u32_e32 v3, vcc_lo, v32, v27, vcc_lo
	v_add_nc_u32_e32 v4, 0x444, v114
	v_mov_b32_e32 v5, v115
	v_add_co_u32 v6, vcc_lo, v31, v0
	v_add_co_ci_u32_e32 v7, vcc_lo, v32, v1, vcc_lo
	v_add_nc_u32_e32 v8, 0x478, v114
	v_mov_b32_e32 v9, v115
	v_lshlrev_b64 v[4:5], 4, v[4:5]
	s_waitcnt lgkmcnt(1)
	global_store_dwordx4 v[6:7], v[16:19], off
	v_add_nc_u32_e32 v24, 0x4e0, v114
	v_mov_b32_e32 v25, v115
	v_lshlrev_b64 v[6:7], 4, v[8:9]
	s_waitcnt lgkmcnt(0)
	global_store_dwordx4 v[2:3], v[12:15], off
	v_add_co_u32 v20, vcc_lo, v31, v4
	v_add_nc_u32_e32 v12, 0x4ac, v114
	v_mov_b32_e32 v13, v115
	v_add_co_ci_u32_e32 v21, vcc_lo, v32, v5, vcc_lo
	v_add_co_u32 v22, vcc_lo, v31, v6
	ds_read_b128 v[0:3], v30 offset:17472
	v_add_co_ci_u32_e32 v23, vcc_lo, v32, v7, vcc_lo
	ds_read_b128 v[4:7], v30 offset:18304
	ds_read_b128 v[8:11], v30 offset:19136
	v_lshlrev_b64 v[26:27], 4, v[12:13]
	ds_read_b128 v[12:15], v30 offset:19968
	ds_read_b128 v[16:19], v30 offset:20800
	v_add_nc_u32_e32 v114, 0x514, v114
	v_lshlrev_b64 v[24:25], 4, v[24:25]
	v_add_co_u32 v26, vcc_lo, v31, v26
	v_lshlrev_b64 v[28:29], 4, v[114:115]
	v_add_co_ci_u32_e32 v27, vcc_lo, v32, v27, vcc_lo
	v_add_co_u32 v24, vcc_lo, v31, v24
	v_add_co_ci_u32_e32 v25, vcc_lo, v32, v25, vcc_lo
	v_add_co_u32 v28, vcc_lo, v31, v28
	v_add_co_ci_u32_e32 v29, vcc_lo, v32, v29, vcc_lo
	s_waitcnt lgkmcnt(4)
	global_store_dwordx4 v[20:21], v[0:3], off
	s_waitcnt lgkmcnt(3)
	global_store_dwordx4 v[22:23], v[4:7], off
	;; [unrolled: 2-line block ×5, first 2 shown]
.LBB0_25:
	s_endpgm
	.section	.rodata,"a",@progbits
	.p2align	6, 0x0
	.amdhsa_kernel fft_rtc_fwd_len1352_factors_2_13_13_4_wgs_52_tpt_52_halfLds_dp_op_CI_CI_unitstride_sbrr_C2R_dirReg
		.amdhsa_group_segment_fixed_size 0
		.amdhsa_private_segment_fixed_size 0
		.amdhsa_kernarg_size 104
		.amdhsa_user_sgpr_count 6
		.amdhsa_user_sgpr_private_segment_buffer 1
		.amdhsa_user_sgpr_dispatch_ptr 0
		.amdhsa_user_sgpr_queue_ptr 0
		.amdhsa_user_sgpr_kernarg_segment_ptr 1
		.amdhsa_user_sgpr_dispatch_id 0
		.amdhsa_user_sgpr_flat_scratch_init 0
		.amdhsa_user_sgpr_private_segment_size 0
		.amdhsa_wavefront_size32 1
		.amdhsa_uses_dynamic_stack 0
		.amdhsa_system_sgpr_private_segment_wavefront_offset 0
		.amdhsa_system_sgpr_workgroup_id_x 1
		.amdhsa_system_sgpr_workgroup_id_y 0
		.amdhsa_system_sgpr_workgroup_id_z 0
		.amdhsa_system_sgpr_workgroup_info 0
		.amdhsa_system_vgpr_workitem_id 0
		.amdhsa_next_free_vgpr 228
		.amdhsa_next_free_sgpr 46
		.amdhsa_reserve_vcc 1
		.amdhsa_reserve_flat_scratch 0
		.amdhsa_float_round_mode_32 0
		.amdhsa_float_round_mode_16_64 0
		.amdhsa_float_denorm_mode_32 3
		.amdhsa_float_denorm_mode_16_64 3
		.amdhsa_dx10_clamp 1
		.amdhsa_ieee_mode 1
		.amdhsa_fp16_overflow 0
		.amdhsa_workgroup_processor_mode 1
		.amdhsa_memory_ordered 1
		.amdhsa_forward_progress 0
		.amdhsa_shared_vgpr_count 0
		.amdhsa_exception_fp_ieee_invalid_op 0
		.amdhsa_exception_fp_denorm_src 0
		.amdhsa_exception_fp_ieee_div_zero 0
		.amdhsa_exception_fp_ieee_overflow 0
		.amdhsa_exception_fp_ieee_underflow 0
		.amdhsa_exception_fp_ieee_inexact 0
		.amdhsa_exception_int_div_zero 0
	.end_amdhsa_kernel
	.text
.Lfunc_end0:
	.size	fft_rtc_fwd_len1352_factors_2_13_13_4_wgs_52_tpt_52_halfLds_dp_op_CI_CI_unitstride_sbrr_C2R_dirReg, .Lfunc_end0-fft_rtc_fwd_len1352_factors_2_13_13_4_wgs_52_tpt_52_halfLds_dp_op_CI_CI_unitstride_sbrr_C2R_dirReg
                                        ; -- End function
	.section	.AMDGPU.csdata,"",@progbits
; Kernel info:
; codeLenInByte = 25832
; NumSgprs: 48
; NumVgprs: 228
; ScratchSize: 0
; MemoryBound: 0
; FloatMode: 240
; IeeeMode: 1
; LDSByteSize: 0 bytes/workgroup (compile time only)
; SGPRBlocks: 5
; VGPRBlocks: 28
; NumSGPRsForWavesPerEU: 48
; NumVGPRsForWavesPerEU: 228
; Occupancy: 4
; WaveLimiterHint : 1
; COMPUTE_PGM_RSRC2:SCRATCH_EN: 0
; COMPUTE_PGM_RSRC2:USER_SGPR: 6
; COMPUTE_PGM_RSRC2:TRAP_HANDLER: 0
; COMPUTE_PGM_RSRC2:TGID_X_EN: 1
; COMPUTE_PGM_RSRC2:TGID_Y_EN: 0
; COMPUTE_PGM_RSRC2:TGID_Z_EN: 0
; COMPUTE_PGM_RSRC2:TIDIG_COMP_CNT: 0
	.text
	.p2alignl 6, 3214868480
	.fill 48, 4, 3214868480
	.type	__hip_cuid_91742316af8c34fb,@object ; @__hip_cuid_91742316af8c34fb
	.section	.bss,"aw",@nobits
	.globl	__hip_cuid_91742316af8c34fb
__hip_cuid_91742316af8c34fb:
	.byte	0                               ; 0x0
	.size	__hip_cuid_91742316af8c34fb, 1

	.ident	"AMD clang version 19.0.0git (https://github.com/RadeonOpenCompute/llvm-project roc-6.4.0 25133 c7fe45cf4b819c5991fe208aaa96edf142730f1d)"
	.section	".note.GNU-stack","",@progbits
	.addrsig
	.addrsig_sym __hip_cuid_91742316af8c34fb
	.amdgpu_metadata
---
amdhsa.kernels:
  - .args:
      - .actual_access:  read_only
        .address_space:  global
        .offset:         0
        .size:           8
        .value_kind:     global_buffer
      - .offset:         8
        .size:           8
        .value_kind:     by_value
      - .actual_access:  read_only
        .address_space:  global
        .offset:         16
        .size:           8
        .value_kind:     global_buffer
      - .actual_access:  read_only
        .address_space:  global
        .offset:         24
        .size:           8
        .value_kind:     global_buffer
      - .actual_access:  read_only
        .address_space:  global
        .offset:         32
        .size:           8
        .value_kind:     global_buffer
      - .offset:         40
        .size:           8
        .value_kind:     by_value
      - .actual_access:  read_only
        .address_space:  global
        .offset:         48
        .size:           8
        .value_kind:     global_buffer
      - .actual_access:  read_only
        .address_space:  global
        .offset:         56
        .size:           8
        .value_kind:     global_buffer
      - .offset:         64
        .size:           4
        .value_kind:     by_value
      - .actual_access:  read_only
        .address_space:  global
        .offset:         72
        .size:           8
        .value_kind:     global_buffer
      - .actual_access:  read_only
        .address_space:  global
        .offset:         80
        .size:           8
        .value_kind:     global_buffer
      - .actual_access:  read_only
        .address_space:  global
        .offset:         88
        .size:           8
        .value_kind:     global_buffer
      - .actual_access:  write_only
        .address_space:  global
        .offset:         96
        .size:           8
        .value_kind:     global_buffer
    .group_segment_fixed_size: 0
    .kernarg_segment_align: 8
    .kernarg_segment_size: 104
    .language:       OpenCL C
    .language_version:
      - 2
      - 0
    .max_flat_workgroup_size: 52
    .name:           fft_rtc_fwd_len1352_factors_2_13_13_4_wgs_52_tpt_52_halfLds_dp_op_CI_CI_unitstride_sbrr_C2R_dirReg
    .private_segment_fixed_size: 0
    .sgpr_count:     48
    .sgpr_spill_count: 0
    .symbol:         fft_rtc_fwd_len1352_factors_2_13_13_4_wgs_52_tpt_52_halfLds_dp_op_CI_CI_unitstride_sbrr_C2R_dirReg.kd
    .uniform_work_group_size: 1
    .uses_dynamic_stack: false
    .vgpr_count:     228
    .vgpr_spill_count: 0
    .wavefront_size: 32
    .workgroup_processor_mode: 1
amdhsa.target:   amdgcn-amd-amdhsa--gfx1030
amdhsa.version:
  - 1
  - 2
...

	.end_amdgpu_metadata
